;; amdgpu-corpus repo=ROCm/aiter kind=harvested arch=n/a opt=n/a

/root/src/amdgpu-assembly/repos/ROCm__aiter/hsa/gfx950/fmha_v3_bwd/bwd_hd64_fp16_a32_pssk_group.co:	file format elf64-amdgpu

Disassembly of section .text:

0000000000004000 <_ZN5aiter43fmha_bwd_hd64_fp16_a32_pssk_group_recompileE>:
	s_and_b32 s1, s1, 0xffff                                   // 000000004000: 8601FF01 0000FFFF
	s_load_dwordx2 s[32:33], s[0:1], 0x0                       // 000000004008: C0060800 00000000
	s_load_dwordx2 s[36:37], s[0:1], 0x10                      // 000000004010: C0060900 00000010
	s_load_dwordx2 s[40:41], s[0:1], 0x20                      // 000000004018: C0060A00 00000020
	s_load_dwordx2 s[8:9], s[0:1], 0x30                        // 000000004020: C0060200 00000030
	s_load_dwordx2 s[12:13], s[0:1], 0x40                      // 000000004028: C0060300 00000040
	s_load_dwordx2 s[16:17], s[0:1], 0x50                      // 000000004030: C0060400 00000050
	s_load_dwordx2 s[20:21], s[0:1], 0x60                      // 000000004038: C0060500 00000060
	s_load_dwordx2 s[24:25], s[0:1], 0x70                      // 000000004040: C0060600 00000070
	s_load_dwordx2 s[28:29], s[0:1], 0x80                      // 000000004048: C0060700 00000080
	s_load_dword s47, s[0:1], 0x90                             // 000000004050: C0020BC0 00000090
	s_load_dword s48, s[0:1], 0xa0                             // 000000004058: C0020C00 000000A0
	s_load_dword s75, s[0:1], 0xd0                             // 000000004060: C00212C0 000000D0
	s_load_dword s5, s[0:1], 0xf0                              // 000000004068: C0020140 000000F0
	s_load_dword s44, s[0:1], 0x100                            // 000000004070: C0020B00 00000100
	s_load_dword s76, s[0:1], 0x110                            // 000000004078: C0021300 00000110
	s_load_dword s6, s[0:1], 0x130                             // 000000004080: C0020180 00000130
	s_load_dword s52, s[0:1], 0x140                            // 000000004088: C0020D00 00000140
	s_load_dword s50, s[0:1], 0x150                            // 000000004090: C0020C80 00000150
	s_load_dword s77, s[0:1], 0x190                            // 000000004098: C0021340 00000190
	s_load_dword s7, s[0:1], 0x1b0                             // 0000000040A0: C00201C0 000001B0
	s_load_dword s78, s[0:1], 0x1c0                            // 0000000040A8: C0021380 000001C0
	s_load_dword s51, s[0:1], 0x1e0                            // 0000000040B0: C0020CC0 000001E0
	s_load_dword s79, s[0:1], 0x1f0                            // 0000000040B8: C00213C0 000001F0
	s_load_dword s80, s[0:1], 0x210                            // 0000000040C0: C0021400 00000210
	s_load_dword s53, s[0:1], 0x230                            // 0000000040C8: C0020D40 00000230
	s_load_dword s49, s[0:1], 0x240                            // 0000000040D0: C0020C40 00000240
	s_load_dwordx2 s[88:89], s[0:1], 0x250                     // 0000000040D8: C0061600 00000250
	s_load_dwordx2 s[92:93], s[0:1], 0x260                     // 0000000040E0: C0061700 00000260
	s_load_dwordx2 s[96:97], s[0:1], 0x270                     // 0000000040E8: C0061800 00000270
	s_load_dwordx2 s[100:101], s[0:1], 0x280                   // 0000000040F0: C0061900 00000280
	v_lshrrev_b32_e32 v1, 10, v0                               // 0000000040F8: 2002008A
	v_lshrrev_b32_e32 v2, 10, v1                               // 0000000040FC: 2004028A
	v_and_b32_e32 v2, 0x3ff, v2                                // 000000004100: 260404FF 000003FF
	v_and_b32_e32 v1, 0x3ff, v1                                // 000000004108: 260202FF 000003FF
	v_and_b32_e32 v0, 0x3ff, v0                                // 000000004110: 260000FF 000003FF
	v_lshrrev_b32_e32 v3, 6, v0                                // 000000004118: 20060086
	v_and_b32_e32 v0, 63, v0                                   // 00000000411C: 260000BF
	s_mov_b32 s2, s2                                           // 000000004120: BE820002
	s_mov_b32 s3, s3                                           // 000000004124: BE830003
	s_mov_b32 s4, s4                                           // 000000004128: BE840004
	v_readfirstlane_b32 s46, v3                                // 00000000412C: 7E5C0503
	s_waitcnt lgkmcnt(0)                                       // 000000004130: BF8CC07F
	s_mul_i32 s60, s4, 4                                       // 000000004134: 923C8404
	s_add_u32 s88, s60, s88                                    // 000000004138: 8058583C
	s_addc_u32 s89, 0, s89                                     // 00000000413C: 82595980
	s_load_dwordx2 s[82:83], s[88:89], 0x0                     // 000000004140: C00614AC 00000000
	s_add_u32 s96, s60, s96                                    // 000000004148: 8060603C
	s_addc_u32 s97, 0, s97                                     // 00000000414C: 82616180
	s_load_dword s86, s[96:97], 0x0                            // 000000004150: C00215B0 00000000
	s_add_u32 s92, s60, s92                                    // 000000004158: 805C5C3C
	s_addc_u32 s93, 0, s93                                     // 00000000415C: 825D5D80
	s_load_dwordx2 s[84:85], s[92:93], 0x0                     // 000000004160: C006152E 00000000
	s_add_u32 s100, s60, s100                                  // 000000004168: 8064643C
	s_addc_u32 s101, 0, s101                                   // 00000000416C: 82656580
	s_load_dword s87, s[100:101], 0x0                          // 000000004170: C00215F2 00000000
	s_mov_b32 s11, 0x20000                                     // 000000004178: BE8B00FF 00020000
	s_mov_b32 s15, 0x20000                                     // 000000004180: BE8F00FF 00020000
	s_mov_b32 s19, 0x20000                                     // 000000004188: BE9300FF 00020000
	s_mov_b32 s23, 0x20000                                     // 000000004190: BE9700FF 00020000
	s_mov_b32 s27, 0x20000                                     // 000000004198: BE9B00FF 00020000
	s_mov_b32 s31, 0x20000                                     // 0000000041A0: BE9F00FF 00020000
	s_mov_b32 s35, 0x20000                                     // 0000000041A8: BEA300FF 00020000
	s_mov_b32 s39, 0x20000                                     // 0000000041B0: BEA700FF 00020000
	s_mov_b32 s43, 0x20000                                     // 0000000041B8: BEAB00FF 00020000
	s_and_b32 s9, s9, 0xffff                                   // 0000000041C0: 8609FF09 0000FFFF
	s_and_b32 s13, s13, 0xffff                                 // 0000000041C8: 860DFF0D 0000FFFF
	s_and_b32 s17, s17, 0xffff                                 // 0000000041D0: 8611FF11 0000FFFF
	s_and_b32 s21, s21, 0xffff                                 // 0000000041D8: 8615FF15 0000FFFF
	s_and_b32 s25, s25, 0xffff                                 // 0000000041E0: 8619FF19 0000FFFF
	s_and_b32 s29, s29, 0xffff                                 // 0000000041E8: 861DFF1D 0000FFFF
	s_and_b32 s33, s33, 0xffff                                 // 0000000041F0: 8621FF21 0000FFFF
	s_and_b32 s37, s37, 0xffff                                 // 0000000041F8: 8625FF25 0000FFFF
	s_and_b32 s41, s41, 0xffff                                 // 000000004200: 8629FF29 0000FFFF
	s_or_b32 s9, s9, 0x40000                                   // 000000004208: 8709FF09 00040000
	s_or_b32 s13, s13, 0x40000                                 // 000000004210: 870DFF0D 00040000
	s_or_b32 s17, s17, 0x40000                                 // 000000004218: 8711FF11 00040000
	s_or_b32 s21, s21, 0x40000                                 // 000000004220: 8715FF15 00040000
	s_or_b32 s25, s25, 0x40000                                 // 000000004228: 8719FF19 00040000
	s_or_b32 s29, s29, 0x40000                                 // 000000004230: 871DFF1D 00040000
	s_or_b32 s33, s33, 0x40000                                 // 000000004238: 8721FF21 00040000
	s_or_b32 s37, s37, 0x40000                                 // 000000004240: 8725FF25 00040000
	s_or_b32 s41, s41, 0x40000                                 // 000000004248: 8729FF29 00040000
	s_waitcnt lgkmcnt(0)                                       // 000000004250: BF8CC07F
	s_mul_i32 s61, s2, 0xc0                                    // 000000004254: 923DFF02 000000C0
	s_sub_i32 s85, s85, s84                                    // 00000000425C: 81D55455
	s_mov_b32 s84, s87                                         // 000000004260: BED40057
	s_sub_i32 s83, s83, s82                                    // 000000004264: 81D35253
	s_mov_b32 s82, s86                                         // 000000004268: BED20056
	s_cmp_gt_i32 s83, 0                                        // 00000000426C: BF028053
	s_cbranch_scc0 label_1585                                  // 000000004270: BF8414C4
	s_mov_b32 s58, s83                                         // 000000004274: BEBA0053
	s_mov_b32 s59, 0                                           // 000000004278: BEBB0080
	s_cmp_ge_i32 s61, s85                                      // 00000000427C: BF03553D
	s_cbranch_scc1 label_1585                                  // 000000004280: BF8514C0
	v_accvgpr_write_b32 a159, 0                                // 000000004284: D3D9409F 18000080
	v_mov_b32_e32 v230, 0                                      // 00000000428C: 7FCC0280
	s_mov_b32 s71, s3                                          // 000000004290: BEC70003
	v_cvt_f32_u32_e32 v32, s44                                 // 000000004294: 7E400C2C
	s_sub_i32 s60, 0, s44                                      // 000000004298: 81BC2C80
	v_rcp_iflag_f32_e32 v32, v32                               // 00000000429C: 7E404720
	s_nop 0                                                    // 0000000042A0: BF800000
	v_mul_f32_e32 v32, 0x4f7ffffe, v32                         // 0000000042A4: 0A4040FF 4F7FFFFE
	v_cvt_u32_f32_e32 v32, v32                                 // 0000000042AC: 7E400F20
	v_mul_lo_u32 v33, s60, v32                                 // 0000000042B0: D2850021 0002403C
	v_mul_hi_u32 v33, v32, v33                                 // 0000000042B8: D2860021 00024320
	v_add_u32_e32 v32, v32, v33                                // 0000000042C0: 68404320
	v_mul_hi_u32 v32, s71, v32                                 // 0000000042C4: D2860020 00024047
	v_mul_lo_u32 v33, v32, s44                                 // 0000000042CC: D2850021 00005920
	v_sub_u32_e32 v35, s71, v33                                // 0000000042D4: 6A464247
	v_add_u32_e32 v34, 1, v32                                  // 0000000042D8: 68444081
	v_cmp_le_u32_e32 vcc, s44, v35                             // 0000000042DC: 7D96462C
	v_subrev_u32_e32 v33, s44, v35                             // 0000000042E0: 6C42462C
	s_nop 0                                                    // 0000000042E4: BF800000
	v_cndmask_b32_e32 v32, v32, v34, vcc                       // 0000000042E8: 00404520
	v_cndmask_b32_e32 v35, v35, v33, vcc                       // 0000000042EC: 00464323
	v_add_u32_e32 v33, 1, v32                                  // 0000000042F0: 68424081
	v_cmp_le_u32_e32 vcc, s44, v35                             // 0000000042F4: 7D96462C
	s_nop 1                                                    // 0000000042F8: BF800001
	v_cndmask_b32_e32 v35, v32, v33, vcc                       // 0000000042FC: 00464320
	s_nop 3                                                    // 000000004300: BF800003
	v_readfirstlane_b32 s45, v35                               // 000000004304: 7E5A0523
	s_nop 3                                                    // 000000004308: BF800003
	s_mov_b32 s88, s8                                          // 00000000430C: BED80008
	s_mov_b32 s90, s12                                         // 000000004310: BEDA000C
	s_mov_b32 s92, s16                                         // 000000004314: BEDC0010
	s_mov_b32 s94, s20                                         // 000000004318: BEDE0014
	s_mov_b32 s89, s9                                          // 00000000431C: BED90009
	s_mov_b32 s91, s13                                         // 000000004320: BEDB000D
	s_mov_b32 s93, s17                                         // 000000004324: BEDD0011
	s_mov_b32 s95, s21                                         // 000000004328: BEDF0015
	v_mov_b32_e32 v32, s47                                     // 00000000432C: 7E40022F
	v_mul_f32_e32 v32, s48, v32                                // 000000004330: 0A404030
	s_mov_b32 s66, 0                                           // 000000004334: BEC20080
	s_mov_b32 s63, 0x5040100                                   // 000000004338: BEBF00FF 05040100
	s_mov_b32 s64, 0x7060302                                   // 000000004340: BEC000FF 07060302
	v_readfirstlane_b32 s57, v32                               // 000000004348: 7E720520
	v_mov_b32_e32 v34, 0x3020706                               // 00000000434C: 7E4402FF 03020706
	v_mov_b32_e32 v32, s63                                     // 000000004354: 7E40023F
	v_and_b32_e32 v33, 1, v0                                   // 000000004358: 26420081
	v_cmp_eq_u32_e32 vcc, 1, v33                               // 00000000435C: 7D944281
	s_mov_b32 s67, 0x800                                       // 000000004360: BEC300FF 00000800
	v_cndmask_b32_e32 v17, v32, v34, vcc                       // 000000004368: 00224520
	v_mov_b32_e32 v226, 0xff800000                             // 00000000436C: 7FC402FF FF800000
	s_mul_i32 s68, 8, s5                                       // 000000004374: 92440588
	s_mul_i32 s81, 8, s51                                      // 000000004378: 92513388
	s_mov_b32 s69, 32                                          // 00000000437C: BEC500A0
	s_mul_i32 s60, s6, 0xc0                                    // 000000004380: 923CFF06 000000C0
	s_mul_i32 s60, s2, s60                                     // 000000004388: 923C3C02
	s_mul_i32 s61, s45, s76                                    // 00000000438C: 923D4C2D
	s_add_u32 s54, s60, s61                                    // 000000004390: 80363D3C
	s_mul_i32 s60, s2, 0xc0                                    // 000000004394: 923CFF02 000000C0
	s_sub_i32 s60, s85, s60                                    // 00000000439C: 81BC3C55
	s_mul_i32 s60, s6, s60                                     // 0000000043A0: 923C3C06
	s_lshr_b32 s60, s60, 2                                     // 0000000043A4: 8F3C823C
	s_mov_b32 s14, s60                                         // 0000000043A8: BE8E003C
	s_add_u32 s12, s54, s90                                    // 0000000043AC: 800C5A36
	s_addc_u32 s13, 0, s91                                     // 0000000043B0: 820D5B80
	s_mul_i32 s60, s84, s6                                     // 0000000043B4: 923C0654
	s_mul_hi_u32 s61, s84, s6                                  // 0000000043B8: 963D0654
	s_and_b32 s61, s61, 0xffff                                 // 0000000043BC: 863DFF3D 0000FFFF
	s_add_u32 s12, s12, s60                                    // 0000000043C4: 800C3C0C
	s_addc_u32 s13, s13, s61                                   // 0000000043C8: 820D3D0D
	s_mul_i32 s60, s7, 0xc0                                    // 0000000043CC: 923CFF07 000000C0
	s_mul_i32 s60, s2, s60                                     // 0000000043D4: 923C3C02
	s_mul_i32 s61, s45, s77                                    // 0000000043D8: 923D4D2D
	s_add_u32 s54, s60, s61                                    // 0000000043DC: 80363D3C
	s_mul_i32 s60, s2, 0xc0                                    // 0000000043E0: 923CFF02 000000C0
	s_sub_i32 s60, s85, s60                                    // 0000000043E8: 81BC3C55
	s_mul_i32 s60, s7, s60                                     // 0000000043EC: 923C3C07
	s_lshr_b32 s60, s60, 2                                     // 0000000043F0: 8F3C823C
	s_mov_b32 s18, s60                                         // 0000000043F4: BE92003C
	s_add_u32 s16, s54, s92                                    // 0000000043F8: 80105C36
	s_addc_u32 s17, 0, s93                                     // 0000000043FC: 82115D80
	s_mul_i32 s60, s84, s7                                     // 000000004400: 923C0754
	s_mul_hi_u32 s61, s84, s7                                  // 000000004404: 963D0754
	s_and_b32 s61, s61, 0xffff                                 // 000000004408: 863DFF3D 0000FFFF
	s_add_u32 s16, s16, s60                                    // 000000004410: 80103C10
	s_addc_u32 s17, s17, s61                                   // 000000004414: 82113D11
	s_mul_i32 s61, s3, s75                                     // 000000004418: 923D4B03
	s_mov_b32 s55, s61                                         // 00000000441C: BEB7003D
	s_mul_i32 s60, s5, s83                                     // 000000004420: 923C5305
	s_lshr_b32 s60, s60, 2                                     // 000000004424: 8F3C823C
	s_mov_b32 s10, s60                                         // 000000004428: BE8A003C
	s_add_u32 s8, s55, s88                                     // 00000000442C: 80085837
	s_addc_u32 s9, 0, s89                                      // 000000004430: 82095980
	s_mul_i32 s60, s82, s5                                     // 000000004434: 923C0552
	s_mul_hi_u32 s61, s82, s5                                  // 000000004438: 963D0552
	s_and_b32 s61, s61, 0xffff                                 // 00000000443C: 863DFF3D 0000FFFF
	s_add_u32 s8, s8, s60                                      // 000000004444: 80083C08
	s_addc_u32 s9, s9, s61                                     // 000000004448: 82093D09
	s_mul_i32 s61, s3, s78                                     // 00000000444C: 923D4E03
	s_mov_b32 s56, s61                                         // 000000004450: BEB8003D
	s_mul_i32 s60, s51, s83                                    // 000000004454: 923C5333
	s_lshr_b32 s60, s60, 2                                     // 000000004458: 8F3C823C
	s_mov_b32 s22, s60                                         // 00000000445C: BE96003C
	s_add_u32 s20, s56, s94                                    // 000000004460: 80145E38
	s_addc_u32 s21, 0, s95                                     // 000000004464: 82155F80
	s_mul_i32 s60, s82, s51                                    // 000000004468: 923C3352
	s_mul_hi_u32 s61, s82, s51                                 // 00000000446C: 963D3352
	s_and_b32 s61, s61, 0xffff                                 // 000000004470: 863DFF3D 0000FFFF
	s_add_u32 s20, s20, s60                                    // 000000004478: 80143C14
	s_addc_u32 s21, s21, s61                                   // 00000000447C: 82153D15
	s_mul_i32 s62, 4, s82                                      // 000000004480: 923E5284
	s_mul_i32 s61, s3, s49                                     // 000000004484: 923D3103
	s_add_u32 s65, s61, s62                                    // 000000004488: 80413E3D
	s_mul_i32 s60, 4, s83                                      // 00000000448C: 923C5384
	s_add_u32 s60, s60, s61                                    // 000000004490: 803C3D3C
	s_add_u32 s60, s60, s62                                    // 000000004494: 803C3E3C
	s_lshr_b32 s60, s60, 2                                     // 000000004498: 8F3C823C
	s_mov_b32 s26, s60                                         // 00000000449C: BE9A003C
	s_mov_b32 s30, s60                                         // 0000000044A0: BE9E003C
	s_cmp_lt_u32 s46, 2                                        // 0000000044A4: BF0A822E
	s_cselect_b32 s24, s24, s28                                // 0000000044A8: 85181C18
	s_cselect_b32 s25, s25, s29                                // 0000000044AC: 85191D19
	s_cselect_b32 s26, s26, s30                                // 0000000044B0: 851A1E1A
	s_cselect_b32 s27, s27, s31                                // 0000000044B4: 851B1F1B
	s_mov_b32 s71, s6                                          // 0000000044B8: BEC70006
	v_lshrrev_b32_e32 v32, 4, v0                               // 0000000044BC: 20400084
	v_and_b32_e32 v33, 1, v32                                  // 0000000044C0: 26424081
	v_lshlrev_b32_e32 v33, 1, v33                              // 0000000044C4: 24424281
	v_mul_i32_i24_e32 v33, s71, v33                            // 0000000044C8: 0C424247
	v_and_b32_e32 v34, 2, v32                                  // 0000000044CC: 26444082
	v_lshlrev_b32_e32 v34, 5, v34                              // 0000000044D0: 24444485
	v_add_u32_e32 v33, v34, v33                                // 0000000044D4: 68424322
	v_and_b32_e32 v32, 15, v0                                  // 0000000044D8: 2640008F
	v_lshlrev_b32_e32 v32, 2, v32                              // 0000000044DC: 24404082
	v_add_u32_e32 v1, v32, v33                                 // 0000000044E0: 68024320
	s_mul_i32 s60, s46, s71                                    // 0000000044E4: 923C472E
	s_mul_i32 s60, s60, 4                                      // 0000000044E8: 923C843C
	v_add_u32_e32 v1, s60, v1                                  // 0000000044EC: 6802023C
	v_add_u32_e32 v2, s71, v1                                  // 0000000044F0: 68040247
	s_mul_i32 s60, 16, s71                                     // 0000000044F4: 923C4790
	v_add_u32_e32 v3, s60, v1                                  // 0000000044F8: 6806023C
	v_add_u32_e32 v4, s60, v2                                  // 0000000044FC: 6808043C
	s_mov_b32 s71, s7                                          // 000000004500: BEC70007
	v_lshrrev_b32_e32 v32, 4, v0                               // 000000004504: 20400084
	v_and_b32_e32 v33, 1, v32                                  // 000000004508: 26424081
	v_lshlrev_b32_e32 v33, 1, v33                              // 00000000450C: 24424281
	v_mul_i32_i24_e32 v33, s71, v33                            // 000000004510: 0C424247
	v_and_b32_e32 v34, 2, v32                                  // 000000004514: 26444082
	v_lshlrev_b32_e32 v34, 5, v34                              // 000000004518: 24444485
	v_add_u32_e32 v33, v34, v33                                // 00000000451C: 68424322
	v_and_b32_e32 v32, 15, v0                                  // 000000004520: 2640008F
	v_lshlrev_b32_e32 v32, 2, v32                              // 000000004524: 24404082
	v_add_u32_e32 v227, v32, v33                               // 000000004528: 69C64320
	s_mul_i32 s60, s46, s71                                    // 00000000452C: 923C472E
	s_mul_i32 s60, s60, 4                                      // 000000004530: 923C843C
	v_add_u32_e32 v227, s60, v227                              // 000000004534: 69C7C63C
	v_add_u32_e32 v228, s71, v227                              // 000000004538: 69C9C647
	s_mul_i32 s60, 16, s71                                     // 00000000453C: 923C4790
	v_add_u32_e32 v229, s60, v227                              // 000000004540: 69CBC63C
	v_add_u32_e32 v230, s60, v228                              // 000000004544: 69CDC83C
	v_lshrrev_b32_e32 v1, 2, v1                                // 000000004548: 20020282
	v_lshrrev_b32_e32 v2, 2, v2                                // 00000000454C: 20040482
	v_lshrrev_b32_e32 v227, 2, v227                            // 000000004550: 21C7C682
	v_lshrrev_b32_e32 v228, 2, v228                            // 000000004554: 21C9C882
	v_and_b32_e32 v11, 31, v0                                  // 000000004558: 2616009F
	v_lshlrev_b32_e32 v11, 2, v11                              // 00000000455C: 24161682
	v_add_u32_e32 v11, s65, v11                                // 000000004560: 68161641
	v_lshrrev_b32_e32 v11, 2, v11                              // 000000004564: 20161682
	s_mov_b32 s70, s52                                         // 000000004568: BEC60034
	v_lshrrev_b32_e32 v32, 3, v0                               // 00000000456C: 20400083
	v_mul_i32_i24_e32 v5, s70, v32                             // 000000004570: 0C0A4046
	v_lshrrev_b32_e32 v5, 2, v5                                // 000000004574: 200A0A82
	v_and_b32_e32 v32, 7, v0                                   // 000000004578: 26400087
	v_lshlrev_b32_e32 v33, 2, v32                              // 00000000457C: 24424082
	v_add_u32_e32 v5, v33, v5                                  // 000000004580: 680A0B21
	s_mul_i32 s60, 16, s70                                     // 000000004584: 923C4690
	s_mul_i32 s60, s46, s60                                    // 000000004588: 923C3C2E
	v_lshlrev_b32_e32 v5, 2, v5                                // 00000000458C: 240A0A82
	v_add_u32_e32 v5, s60, v5                                  // 000000004590: 680A0A3C
	s_mul_i32 s60, 0xc0, s52                                   // 000000004594: 923C34FF 000000C0
	s_mul_i32 s60, s2, s60                                     // 00000000459C: 923C3C02
	s_mul_i32 s61, s3, s79                                     // 0000000045A0: 923D4F03
	s_mul_i32 s62, s84, s52                                    // 0000000045A4: 923E3454
	s_add_u32 s60, s60, s61                                    // 0000000045A8: 803C3D3C
	v_add_u32_e32 v5, s60, v5                                  // 0000000045AC: 680A0A3C
	v_lshrrev_b32_e32 v5, 2, v5                                // 0000000045B0: 200A0A82
	s_mul_i32 s60, s85, s52                                    // 0000000045B4: 923C3455
	s_add_u32 s60, s60, s61                                    // 0000000045B8: 803C3D3C
	s_lshr_b32 s60, s60, 2                                     // 0000000045BC: 8F3C823C
	s_mov_b32 s38, s60                                         // 0000000045C0: BEA6003C
	s_mul_hi_u32 s60, s84, s52                                 // 0000000045C4: 963C3454
	s_and_b32 s60, s60, 0xffff                                 // 0000000045C8: 863CFF3C 0000FFFF
	s_add_u32 s36, s62, s36                                    // 0000000045D0: 8024243E
	s_addc_u32 s37, s60, s37                                   // 0000000045D4: 8225253C
	s_mov_b32 s70, s53                                         // 0000000045D8: BEC60035
	v_lshrrev_b32_e32 v32, 3, v0                               // 0000000045DC: 20400083
	v_mul_i32_i24_e32 v10, s70, v32                            // 0000000045E0: 0C144046
	v_lshrrev_b32_e32 v10, 2, v10                              // 0000000045E4: 20141482
	v_and_b32_e32 v32, 7, v0                                   // 0000000045E8: 26400087
	v_lshlrev_b32_e32 v33, 2, v32                              // 0000000045EC: 24424082
	v_add_u32_e32 v10, v33, v10                                // 0000000045F0: 68141521
	s_mul_i32 s60, 16, s70                                     // 0000000045F4: 923C4690
	s_mul_i32 s60, s46, s60                                    // 0000000045F8: 923C3C2E
	v_lshlrev_b32_e32 v10, 2, v10                              // 0000000045FC: 24141482
	v_add_u32_e32 v10, s60, v10                                // 000000004600: 6814143C
	s_mul_i32 s60, 0xc0, s53                                   // 000000004604: 923C35FF 000000C0
	s_mul_i32 s60, s2, s60                                     // 00000000460C: 923C3C02
	s_mul_i32 s61, s3, s80                                     // 000000004610: 923D5003
	s_mul_i32 s62, s84, s53                                    // 000000004614: 923E3554
	s_add_u32 s60, s60, s61                                    // 000000004618: 803C3D3C
	v_add_u32_e32 v10, s60, v10                                // 00000000461C: 6814143C
	v_lshrrev_b32_e32 v10, 2, v10                              // 000000004620: 20141482
	s_mul_i32 s60, s85, s53                                    // 000000004624: 923C3555
	s_add_u32 s60, s60, s61                                    // 000000004628: 803C3D3C
	s_lshr_b32 s60, s60, 2                                     // 00000000462C: 8F3C823C
	s_mov_b32 s42, s60                                         // 000000004630: BEAA003C
	s_mul_hi_u32 s60, s84, s53                                 // 000000004634: 963C3554
	s_and_b32 s60, s60, 0xffff                                 // 000000004638: 863CFF3C 0000FFFF
	s_add_u32 s40, s62, s40                                    // 000000004640: 8028283E
	s_addc_u32 s41, s60, s41                                   // 000000004644: 8229293C
	v_lshrrev_b32_e32 v32, 5, v0                               // 000000004648: 20400085
	v_mul_i32_i24_e32 v6, 0x80, v32                            // 00000000464C: 0C0C40FF 00000080
	v_and_b32_e32 v32, 31, v0                                  // 000000004654: 2640009F
	v_add_u32_e32 v6, v32, v6                                  // 000000004658: 680C0D20
	s_mul_i32 s60, s46, 0x100                                  // 00000000465C: 923CFF2E 00000100
	v_add_u32_e32 v6, s60, v6                                  // 000000004664: 680C0C3C
	v_lshlrev_b32_e32 v6, 2, v6                                // 000000004668: 240C0C82
	v_add_u32_e32 v7, 0x100, v6                                // 00000000466C: 680E0CFF 00000100
	v_add_u32_e32 v8, 0x1000, v6                               // 000000004674: 68100CFF 00001000
	v_add_u32_e32 v9, 0x1000, v7                               // 00000000467C: 68120EFF 00001000
	s_mul_i32 s72, 64, s65                                     // 000000004684: 924841C0
	s_mul_hi_u32 s62, 64, s65                                  // 000000004688: 963E41C0
	s_and_b32 s62, s62, 0xffff                                 // 00000000468C: 863EFF3E 0000FFFF
	s_add_u32 s32, s72, s32                                    // 000000004694: 80202048
	s_addc_u32 s33, s62, s33                                   // 000000004698: 8221213E
	s_mul_i32 s60, 64, s83                                     // 00000000469C: 923C53C0
	s_mov_b32 s34, s60                                         // 0000000046A0: BEA2003C
	v_lshrrev_b32_e32 v6, 2, v6                                // 0000000046A4: 200C0C82
	v_lshrrev_b32_e32 v7, 2, v7                                // 0000000046A8: 200E0E82
	v_lshrrev_b32_e32 v8, 2, v8                                // 0000000046AC: 20101082
	v_lshrrev_b32_e32 v9, 2, v9                                // 0000000046B0: 20121282
	s_mul_i32 s60, 3, s2                                       // 0000000046B4: 923C0283
	s_add_u32 s61, s85, 63                                     // 0000000046B8: 803DBF55
	s_lshr_b32 s61, s61, 6                                     // 0000000046BC: 8F3D863D
	s_sub_i32 s73, s61, s60                                    // 0000000046C0: 81C93C3D
	s_cmp_lt_i32 s73, 3                                        // 0000000046C4: BF048349
	s_cselect_b32 s73, s73, 3                                  // 0000000046C8: 85498349
	s_mul_i32 s60, 0xc0, s2                                    // 0000000046CC: 923C02FF 000000C0
	s_sub_i32 s83, s85, s60                                    // 0000000046D4: 81D33C55
	s_lshr_b32 s60, s46, 1                                     // 0000000046D8: 8F3C812E
	s_lshl_b32 s60, s60, 8                                     // 0000000046DC: 8E3C883C
	s_add_u32 s74, 0x9a00, s60                                 // 0000000046E0: 804A3CFF 00009A00
	s_add_u32 s75, 0x200, s74                                  // 0000000046E8: 804B4AFF 00000200
	s_mov_b32 m0, s74                                          // 0000000046F0: BEFC004A
	v_and_b32_e32 v32, 31, v0                                  // 0000000046F4: 2640009F
	v_lshrrev_b32_e32 v32, 1, v32                              // 0000000046F8: 20404081
	v_and_b32_e32 v33, 1, v32                                  // 0000000046FC: 26424081
	v_lshlrev_b32_e32 v33, 4, v33                              // 000000004700: 24424284
	v_and_b32_e32 v34, 2, v32                                  // 000000004704: 26444082
	v_lshlrev_b32_e32 v34, 2, v34                              // 000000004708: 24444482
	v_add_u32_e32 v33, v34, v33                                // 00000000470C: 68424322
	v_and_b32_e32 v34, 12, v32                                 // 000000004710: 2644408C
	v_lshrrev_b32_e32 v34, 1, v34                              // 000000004714: 20444481
	v_add_u32_e32 v33, v34, v33                                // 000000004718: 68424322
	v_lshrrev_b32_e32 v32, 5, v0                               // 00000000471C: 20400085
	v_mul_i32_i24_e32 v34, 0x80, v32                           // 000000004720: 0C4440FF 00000080
	v_add_u32_e32 v33, v34, v33                                // 000000004728: 68424322
	v_and_b32_e32 v34, 1, v0                                   // 00000000472C: 26440081
	v_add_u32_e32 v13, v34, v33                                // 000000004730: 681A4322
	s_mul_i32 s60, s46, 32                                     // 000000004734: 923CA02E
	v_add_u32_e32 v13, s60, v13                                // 000000004738: 681A1A3C
	v_lshlrev_b32_e32 v13, 2, v13                              // 00000000473C: 241A1A82
	v_lshrrev_b32_e32 v32, 4, v0                               // 000000004740: 20400084
	v_and_b32_e32 v33, 1, v32                                  // 000000004744: 26424081
	v_lshlrev_b32_e32 v33, 4, v33                              // 000000004748: 24424284
	v_and_b32_e32 v34, 2, v32                                  // 00000000474C: 26444082
	v_mul_i32_i24_e32 v34, 4, v34                              // 000000004750: 0C444484
	v_add_u32_e32 v33, v34, v33                                // 000000004754: 68424322
	v_and_b32_e32 v32, 15, v0                                  // 000000004758: 2640008F
	v_lshrrev_b32_e32 v34, 2, v32                              // 00000000475C: 20444082
	v_lshlrev_b32_e32 v34, 5, v34                              // 000000004760: 24444485
	v_add_u32_e32 v33, v34, v33                                // 000000004764: 68424322
	v_and_b32_e32 v32, 3, v0                                   // 000000004768: 26400083
	v_and_b32_e32 v34, 1, v32                                  // 00000000476C: 26444081
	v_mul_i32_i24_e32 v34, 0x108, v34                          // 000000004770: 0C4444FF 00000108
	v_add_u32_e32 v33, v34, v33                                // 000000004778: 68424322
	v_and_b32_e32 v34, 2, v32                                  // 00000000477C: 26444082
	v_lshlrev_b32_e32 v34, 1, v34                              // 000000004780: 24444481
	v_add_u32_e32 v12, v34, v33                                // 000000004784: 68184322
	v_lshlrev_b32_e32 v12, 2, v12                              // 000000004788: 24181882
	s_mul_i32 s60, s46, 0x880                                  // 00000000478C: 923CFF2E 00000880
	v_add_u32_e32 v24, s60, v12                                // 000000004794: 6830183C
	v_lshrrev_b32_e32 v32, 5, v0                               // 000000004798: 20400085
	v_mul_i32_i24_e32 v15, 0x80, v32                           // 00000000479C: 0C1E40FF 00000080
	v_and_b32_e32 v32, 31, v0                                  // 0000000047A4: 2640009F
	v_and_b32_e32 v33, 7, v32                                  // 0000000047A8: 26424087
	v_and_b32_e32 v34, 1, v33                                  // 0000000047AC: 26444281
	v_lshlrev_b32_e32 v34, 2, v34                              // 0000000047B0: 24444482
	v_add_u32_e32 v15, v34, v15                                // 0000000047B4: 681E1F22
	v_and_b32_e32 v34, 2, v33                                  // 0000000047B8: 26444282
	v_lshlrev_b32_e32 v34, 3, v34                              // 0000000047BC: 24444483
	v_add_u32_e32 v15, v34, v15                                // 0000000047C0: 681E1F22
	v_and_b32_e32 v34, 4, v33                                  // 0000000047C4: 26444284
	v_lshlrev_b32_e32 v34, 1, v34                              // 0000000047C8: 24444481
	v_add_u32_e32 v15, v34, v15                                // 0000000047CC: 681E1F22
	v_lshrrev_b32_e32 v33, 3, v32                              // 0000000047D0: 20424083
	v_and_b32_e32 v34, 1, v33                                  // 0000000047D4: 26444281
	v_lshlrev_b32_e32 v34, 1, v34                              // 0000000047D8: 24444481
	v_add_u32_e32 v15, v34, v15                                // 0000000047DC: 681E1F22
	v_and_b32_e32 v34, 2, v33                                  // 0000000047E0: 26444282
	v_lshrrev_b32_e32 v34, 1, v34                              // 0000000047E4: 20444481
	v_add_u32_e32 v15, v34, v15                                // 0000000047E8: 681E1F22
	s_mul_i32 s60, s46, 32                                     // 0000000047EC: 923CA02E
	v_add_u32_e32 v15, s60, v15                                // 0000000047F0: 681E1E3C
	v_lshlrev_b32_e32 v15, 2, v15                              // 0000000047F4: 241E1E82
	v_and_b32_e32 v32, 15, v0                                  // 0000000047F8: 2640008F
	v_and_b32_e32 v34, 1, v32                                  // 0000000047FC: 26444081
	v_mul_i32_i24_e32 v14, 0x108, v34                          // 000000004800: 0C1C44FF 00000108
	v_and_b32_e32 v34, 2, v32                                  // 000000004808: 26444082
	v_lshlrev_b32_e32 v34, 1, v34                              // 00000000480C: 24444481
	v_add_u32_e32 v14, v34, v14                                // 000000004810: 681C1D22
	v_and_b32_e32 v34, 4, v32                                  // 000000004814: 26444084
	v_lshlrev_b32_e32 v34, 2, v34                              // 000000004818: 24444482
	v_add_u32_e32 v14, v34, v14                                // 00000000481C: 681C1D22
	v_and_b32_e32 v34, 8, v32                                  // 000000004820: 26444088
	v_add_u32_e32 v14, v34, v14                                // 000000004824: 681C1D22
	v_lshrrev_b32_e32 v32, 4, v0                               // 000000004828: 20400084
	v_and_b32_e32 v34, 1, v32                                  // 00000000482C: 26444081
	v_lshlrev_b32_e32 v34, 5, v34                              // 000000004830: 24444485
	v_add_u32_e32 v14, v34, v14                                // 000000004834: 681C1D22
	v_and_b32_e32 v33, 2, v32                                  // 000000004838: 26424082
	v_mul_i32_i24_e32 v34, 32, v33                             // 00000000483C: 0C4442A0
	v_mul_i32_i24_e32 v33, 0x110, v33                          // 000000004840: 0C4242FF 00000110
	v_add_u32_e32 v25, v33, v14                                // 000000004848: 68321D21
	v_add_u32_e32 v14, v34, v14                                // 00000000484C: 681C1D22
	v_lshlrev_b32_e32 v14, 2, v14                              // 000000004850: 241C1C82
	v_lshlrev_b32_e32 v25, 2, v25                              // 000000004854: 24323282
	s_and_b32 s60, 1, s46                                      // 000000004858: 863C2E81
	s_mul_i32 s60, s60, 0x200                                  // 00000000485C: 923CFF3C 00000200
	v_add_u32_e32 v25, s60, v25                                // 000000004864: 6832323C
	v_lshrrev_b32_e32 v32, 4, v0                               // 000000004868: 20400084
	v_mul_i32_i24_e32 v23, 4, v32                              // 00000000486C: 0C2E4084
	v_and_b32_e32 v33, 3, v0                                   // 000000004870: 26420083
	v_add_u32_e32 v23, v33, v23                                // 000000004874: 682E2F21
	v_lshlrev_b32_e32 v23, 2, v23                              // 000000004878: 242E2E82
	v_lshrrev_b32_e32 v32, 4, v0                               // 00000000487C: 20400084
	v_and_b32_e32 v33, 1, v32                                  // 000000004880: 26424081
	v_mul_i32_i24_e32 v21, 0x100, v33                          // 000000004884: 0C2A42FF 00000100
	v_and_b32_e32 v33, 2, v32                                  // 00000000488C: 26424082
	v_mul_i32_i24_e32 v33, 64, v33                             // 000000004890: 0C4242C0
	v_add_u32_e32 v21, v33, v21                                // 000000004894: 682A2B21
	v_and_b32_e32 v32, 15, v0                                  // 000000004898: 2640008F
	v_mul_i32_i24_e32 v33, 2, v32                              // 00000000489C: 0C424082
	v_add_u32_e32 v21, v33, v21                                // 0000000048A0: 682A2B21
	s_mul_i32 s60, s46, 32                                     // 0000000048A4: 923CA02E
	v_add_u32_e32 v21, s60, v21                                // 0000000048A8: 682A2A3C
	v_lshlrev_b32_e32 v21, 2, v21                              // 0000000048AC: 242A2A82
	v_lshlrev_b32_e32 v22, 1, v0                               // 0000000048B0: 242C0081
	s_mul_i32 s60, s46, 0x200                                  // 0000000048B4: 923CFF2E 00000200
	v_add_u32_e32 v22, s60, v22                                // 0000000048BC: 682C2C3C
	v_lshlrev_b32_e32 v22, 2, v22                              // 0000000048C0: 242C2C82
	v_lshrrev_b32_e32 v32, 5, v0                               // 0000000048C4: 20400085
	v_mul_i32_i24_e32 v19, 64, v32                             // 0000000048C8: 0C2640C0
	v_and_b32_e32 v32, 31, v0                                  // 0000000048CC: 2640009F
	v_and_b32_e32 v32, 3, v32                                  // 0000000048D0: 26404083
	v_and_b32_e32 v33, 1, v32                                  // 0000000048D4: 26424081
	v_mul_i32_i24_e32 v33, 4, v33                              // 0000000048D8: 0C424284
	v_add_u32_e32 v19, v33, v19                                // 0000000048DC: 68262721
	v_and_b32_e32 v33, 2, v32                                  // 0000000048E0: 26424082
	v_mul_i32_i24_e32 v33, 0x44, v33                           // 0000000048E4: 0C4242FF 00000044
	v_add_u32_e32 v19, v33, v19                                // 0000000048EC: 68262721
	v_and_b32_e32 v32, 31, v0                                  // 0000000048F0: 2640009F
	v_lshrrev_b32_e32 v32, 2, v32                              // 0000000048F4: 20404082
	v_lshrrev_b32_e32 v34, 2, v32                              // 0000000048F8: 20444082
	v_mul_i32_i24_e32 v33, 16, v34                             // 0000000048FC: 0C424490
	v_add_u32_e32 v19, v33, v19                                // 000000004900: 68262721
	v_and_b32_e32 v33, 2, v32                                  // 000000004904: 26424082
	v_lshlrev_b32_e32 v33, 4, v33                              // 000000004908: 24424284
	v_add_u32_e32 v19, v33, v19                                // 00000000490C: 68262721
	v_and_b32_e32 v33, 1, v32                                  // 000000004910: 26424081
	v_xor_b32_e32 v33, v34, v33                                // 000000004914: 2A424322
	v_mul_i32_i24_e32 v33, 8, v33                              // 000000004918: 0C424288
	v_add_u32_e32 v19, v33, v19                                // 00000000491C: 68262721
	s_lshr_b32 s60, s46, 1                                     // 000000004920: 8F3C812E
	s_mul_i32 s60, s60, 0x6c0                                  // 000000004924: 923CFF3C 000006C0
	v_add_u32_e32 v19, s60, v19                                // 00000000492C: 6826263C
	v_lshlrev_b32_e32 v19, 2, v19                              // 000000004930: 24262682
	v_lshrrev_b32_e32 v32, 5, v0                               // 000000004934: 20400085
	v_mul_i32_i24_e32 v20, 32, v32                             // 000000004938: 0C2840A0
	v_and_b32_e32 v32, 31, v0                                  // 00000000493C: 2640009F
	v_and_b32_e32 v32, 3, v32                                  // 000000004940: 26404083
	v_and_b32_e32 v33, 1, v32                                  // 000000004944: 26424081
	v_mul_i32_i24_e32 v33, 4, v33                              // 000000004948: 0C424284
	v_add_u32_e32 v20, v33, v20                                // 00000000494C: 68282921
	v_and_b32_e32 v33, 2, v32                                  // 000000004950: 26424082
	v_lshrrev_b32_e32 v33, 1, v33                              // 000000004954: 20424281
	v_add_u32_e32 v20, v33, v20                                // 000000004958: 68282921
	v_and_b32_e32 v32, 31, v0                                  // 00000000495C: 2640009F
	v_lshrrev_b32_e32 v32, 2, v32                              // 000000004960: 20404082
	v_and_b32_e32 v34, 1, v32                                  // 000000004964: 26444081
	v_mul_i32_i24_e32 v33, 16, v34                             // 000000004968: 0C424490
	v_add_u32_e32 v20, v33, v20                                // 00000000496C: 68282921
	v_and_b32_e32 v33, 2, v32                                  // 000000004970: 26424082
	v_add_u32_e32 v20, v33, v20                                // 000000004974: 68282921
	v_lshrrev_b32_e32 v33, 2, v32                              // 000000004978: 20424082
	v_xor_b32_e32 v33, v34, v33                                // 00000000497C: 2A424322
	v_mul_i32_i24_e32 v33, 8, v33                              // 000000004980: 0C424288
	v_add_u32_e32 v20, v33, v20                                // 000000004984: 68282921
	s_and_b32 s60, 1, s46                                      // 000000004988: 863C2E81
	s_mul_i32 s60, s60, 64                                     // 00000000498C: 923CC03C
	s_lshr_b32 s61, s46, 1                                     // 000000004990: 8F3D812E
	s_mul_i32 s61, s61, 0x120                                  // 000000004994: 923DFF3D 00000120
	s_add_u32 s60, s60, s61                                    // 00000000499C: 803C3D3C
	v_add_u32_e32 v20, s60, v20                                // 0000000049A0: 6828283C
	v_lshlrev_b32_e32 v20, 2, v20                              // 0000000049A4: 24282882
	buffer_load_dword v178, v1, s[12:15], 0 idxen              // 0000000049A8: E0502000 8003B201
	buffer_load_dword v179, v2, s[12:15], 0 idxen              // 0000000049B0: E0502000 8003B302
	s_mul_i32 s60, 4, s6                                       // 0000000049B8: 923C0684
	s_cmp_lt_i32 0, s73                                        // 0000000049BC: BF044980
	s_cselect_b32 s60, s60, 0                                  // 0000000049C0: 853C803C
	v_add_u32_e32 v1, s60, v1                                  // 0000000049C4: 6802023C
	v_add_u32_e32 v2, s60, v2                                  // 0000000049C8: 6804043C
	buffer_load_dword v180, v1, s[12:15], 0 idxen              // 0000000049CC: E0502000 8003B401
	buffer_load_dword v181, v2, s[12:15], 0 idxen              // 0000000049D4: E0502000 8003B502
	s_mul_i32 s60, 4, s6                                       // 0000000049DC: 923C0684
	s_cmp_lt_i32 0, s73                                        // 0000000049E0: BF044980
	s_cselect_b32 s60, s60, 0                                  // 0000000049E4: 853C803C
	v_add_u32_e32 v1, s60, v1                                  // 0000000049E8: 6802023C
	v_add_u32_e32 v2, s60, v2                                  // 0000000049EC: 6804043C
	buffer_load_dword v182, v1, s[12:15], 0 idxen              // 0000000049F0: E0502000 8003B601
	buffer_load_dword v183, v2, s[12:15], 0 idxen              // 0000000049F8: E0502000 8003B702
	s_mul_i32 s60, 4, s6                                       // 000000004A00: 923C0684
	s_cmp_lt_i32 0, s73                                        // 000000004A04: BF044980
	s_cselect_b32 s60, s60, 0                                  // 000000004A08: 853C803C
	v_add_u32_e32 v1, s60, v1                                  // 000000004A0C: 6802023C
	v_add_u32_e32 v2, s60, v2                                  // 000000004A10: 6804043C
	buffer_load_dword v184, v1, s[12:15], 0 idxen              // 000000004A14: E0502000 8003B801
	buffer_load_dword v185, v2, s[12:15], 0 idxen              // 000000004A1C: E0502000 8003B902
	s_mul_i32 s60, 4, s6                                       // 000000004A24: 923C0684
	s_cmp_lt_i32 1, s73                                        // 000000004A28: BF044981
	s_cselect_b32 s60, s60, 0                                  // 000000004A2C: 853C803C
	v_add_u32_e32 v1, s60, v1                                  // 000000004A30: 6802023C
	v_add_u32_e32 v2, s60, v2                                  // 000000004A34: 6804043C
	buffer_load_dword v186, v1, s[12:15], 0 idxen              // 000000004A38: E0502000 8003BA01
	buffer_load_dword v187, v2, s[12:15], 0 idxen              // 000000004A40: E0502000 8003BB02
	s_mul_i32 s60, 4, s6                                       // 000000004A48: 923C0684
	s_cmp_lt_i32 1, s73                                        // 000000004A4C: BF044981
	s_cselect_b32 s60, s60, 0                                  // 000000004A50: 853C803C
	v_add_u32_e32 v1, s60, v1                                  // 000000004A54: 6802023C
	v_add_u32_e32 v2, s60, v2                                  // 000000004A58: 6804043C
	buffer_load_dword v188, v1, s[12:15], 0 idxen              // 000000004A5C: E0502000 8003BC01
	buffer_load_dword v189, v2, s[12:15], 0 idxen              // 000000004A64: E0502000 8003BD02
	s_mul_i32 s60, 4, s6                                       // 000000004A6C: 923C0684
	s_cmp_lt_i32 1, s73                                        // 000000004A70: BF044981
	s_cselect_b32 s60, s60, 0                                  // 000000004A74: 853C803C
	v_add_u32_e32 v1, s60, v1                                  // 000000004A78: 6802023C
	v_add_u32_e32 v2, s60, v2                                  // 000000004A7C: 6804043C
	buffer_load_dword v190, v1, s[12:15], 0 idxen              // 000000004A80: E0502000 8003BE01
	buffer_load_dword v191, v2, s[12:15], 0 idxen              // 000000004A88: E0502000 8003BF02
	s_mul_i32 s60, 4, s6                                       // 000000004A90: 923C0684
	s_cmp_lt_i32 1, s73                                        // 000000004A94: BF044981
	s_cselect_b32 s60, s60, 0                                  // 000000004A98: 853C803C
	v_add_u32_e32 v1, s60, v1                                  // 000000004A9C: 6802023C
	v_add_u32_e32 v2, s60, v2                                  // 000000004AA0: 6804043C
	buffer_load_dword v192, v1, s[12:15], 0 idxen              // 000000004AA4: E0502000 8003C001
	buffer_load_dword v193, v2, s[12:15], 0 idxen              // 000000004AAC: E0502000 8003C102
	s_mul_i32 s60, 4, s6                                       // 000000004AB4: 923C0684
	s_cmp_lt_i32 2, s73                                        // 000000004AB8: BF044982
	s_cselect_b32 s60, s60, 0                                  // 000000004ABC: 853C803C
	v_add_u32_e32 v1, s60, v1                                  // 000000004AC0: 6802023C
	v_add_u32_e32 v2, s60, v2                                  // 000000004AC4: 6804043C
	buffer_load_dword v194, v1, s[12:15], 0 idxen              // 000000004AC8: E0502000 8003C201
	buffer_load_dword v195, v2, s[12:15], 0 idxen              // 000000004AD0: E0502000 8003C302
	s_mul_i32 s60, 4, s6                                       // 000000004AD8: 923C0684
	s_cmp_lt_i32 2, s73                                        // 000000004ADC: BF044982
	s_cselect_b32 s60, s60, 0                                  // 000000004AE0: 853C803C
	v_add_u32_e32 v1, s60, v1                                  // 000000004AE4: 6802023C
	v_add_u32_e32 v2, s60, v2                                  // 000000004AE8: 6804043C
	buffer_load_dword v196, v1, s[12:15], 0 idxen              // 000000004AEC: E0502000 8003C401
	buffer_load_dword v197, v2, s[12:15], 0 idxen              // 000000004AF4: E0502000 8003C502
	s_mul_i32 s60, 4, s6                                       // 000000004AFC: 923C0684
	s_cmp_lt_i32 2, s73                                        // 000000004B00: BF044982
	s_cselect_b32 s60, s60, 0                                  // 000000004B04: 853C803C
	v_add_u32_e32 v1, s60, v1                                  // 000000004B08: 6802023C
	v_add_u32_e32 v2, s60, v2                                  // 000000004B0C: 6804043C
	buffer_load_dword v198, v1, s[12:15], 0 idxen              // 000000004B10: E0502000 8003C601
	buffer_load_dword v199, v2, s[12:15], 0 idxen              // 000000004B18: E0502000 8003C702
	s_mul_i32 s60, 4, s6                                       // 000000004B20: 923C0684
	s_cmp_lt_i32 2, s73                                        // 000000004B24: BF044982
	s_cselect_b32 s60, s60, 0                                  // 000000004B28: 853C803C
	v_add_u32_e32 v1, s60, v1                                  // 000000004B2C: 6802023C
	v_add_u32_e32 v2, s60, v2                                  // 000000004B30: 6804043C
	buffer_load_dword v200, v1, s[12:15], 0 idxen              // 000000004B34: E0502000 8003C801
	buffer_load_dword v201, v2, s[12:15], 0 idxen              // 000000004B3C: E0502000 8003C902
	s_mul_i32 s60, 4, s6                                       // 000000004B44: 923C0684
	s_cmp_lt_i32 3, s73                                        // 000000004B48: BF044983
	s_cselect_b32 s60, s60, 0                                  // 000000004B4C: 853C803C
	v_add_u32_e32 v1, s60, v1                                  // 000000004B50: 6802023C
	v_add_u32_e32 v2, s60, v2                                  // 000000004B54: 6804043C
	s_waitcnt vmcnt(16) lgkmcnt(0)                             // 000000004B58: BF8C4070
	s_barrier                                                  // 000000004B5C: BF8A0000
	s_cmp_lt_i32 0, s73                                        // 000000004B60: BF044980
	s_cbranch_scc1 label_02E2                                  // 000000004B64: BF850008
	v_mov_b32_e32 v178, 0                                      // 000000004B68: 7F640280
	v_mov_b32_e32 v179, 0                                      // 000000004B6C: 7F660280
	v_mov_b32_e32 v180, 0                                      // 000000004B70: 7F680280
	v_mov_b32_e32 v181, 0                                      // 000000004B74: 7F6A0280
	v_mov_b32_e32 v182, 0                                      // 000000004B78: 7F6C0280
	v_mov_b32_e32 v183, 0                                      // 000000004B7C: 7F6E0280
	v_mov_b32_e32 v184, 0                                      // 000000004B80: 7F700280
	v_mov_b32_e32 v185, 0                                      // 000000004B84: 7F720280

0000000000004b88 <label_02E2>:
	v_perm_b32 v202, v179, v178, s63                           // 000000004B88: D1ED00CA 00FF65B3
	v_perm_b32 v203, v179, v178, s64                           // 000000004B90: D1ED00CB 010365B3
	v_perm_b32 v204, v181, v180, s63                           // 000000004B98: D1ED00CC 00FF69B5
	v_perm_b32 v205, v181, v180, s64                           // 000000004BA0: D1ED00CD 010369B5
	v_perm_b32 v206, v183, v182, s63                           // 000000004BA8: D1ED00CE 00FF6DB7
	v_perm_b32 v207, v183, v182, s64                           // 000000004BB0: D1ED00CF 01036DB7
	v_perm_b32 v208, v185, v184, s63                           // 000000004BB8: D1ED00D0 00FF71B9
	v_perm_b32 v209, v185, v184, s64                           // 000000004BC0: D1ED00D1 010371B9
	ds_write_b32 v15, v202 offset:8704                         // 000000004BC8: D81A2200 0000CA0F
	ds_write_b32 v15, v203 offset:9760                         // 000000004BD0: D81A2620 0000CB0F
	ds_write_b32 v15, v204 offset:10880                        // 000000004BD8: D81A2A80 0000CC0F
	ds_write_b32 v15, v205 offset:11936                        // 000000004BE0: D81A2EA0 0000CD0F
	ds_write_b32 v15, v206 offset:13056                        // 000000004BE8: D81A3300 0000CE0F
	ds_write_b32 v15, v207 offset:14112                        // 000000004BF0: D81A3720 0000CF0F
	ds_write_b32 v15, v208 offset:15232                        // 000000004BF8: D81A3B80 0000D00F
	ds_write_b32 v15, v209 offset:16288                        // 000000004C00: D81A3FA0 0000D10F
	ds_write_b32 v13, v178                                     // 000000004C08: D81A0000 0000B20D
	ds_write_b32 v13, v179 offset:1056                         // 000000004C10: D81A0420 0000B30D
	ds_write_b32 v13, v180 offset:2176                         // 000000004C18: D81A0880 0000B40D
	ds_write_b32 v13, v181 offset:3232                         // 000000004C20: D81A0CA0 0000B50D
	ds_write_b32 v13, v182 offset:4352                         // 000000004C28: D81A1100 0000B60D
	ds_write_b32 v13, v183 offset:5408                         // 000000004C30: D81A1520 0000B70D
	ds_write_b32 v13, v184 offset:6528                         // 000000004C38: D81A1980 0000B80D
	ds_write_b32 v13, v185 offset:7584                         // 000000004C40: D81A1DA0 0000B90D
	buffer_load_dword v178, v227, s[16:19], 0 idxen            // 000000004C48: E0502000 8004B2E3
	buffer_load_dword v179, v228, s[16:19], 0 idxen            // 000000004C50: E0502000 8004B3E4
	s_mul_i32 s60, 4, s7                                       // 000000004C58: 923C0784
	s_cmp_lt_i32 0, s73                                        // 000000004C5C: BF044980
	s_cselect_b32 s60, s60, 0                                  // 000000004C60: 853C803C
	v_add_u32_e32 v227, s60, v227                              // 000000004C64: 69C7C63C
	v_add_u32_e32 v228, s60, v228                              // 000000004C68: 69C9C83C
	buffer_load_dword v180, v227, s[16:19], 0 idxen            // 000000004C6C: E0502000 8004B4E3
	buffer_load_dword v181, v228, s[16:19], 0 idxen            // 000000004C74: E0502000 8004B5E4
	s_mul_i32 s60, 4, s7                                       // 000000004C7C: 923C0784
	s_cmp_lt_i32 0, s73                                        // 000000004C80: BF044980
	s_cselect_b32 s60, s60, 0                                  // 000000004C84: 853C803C
	v_add_u32_e32 v227, s60, v227                              // 000000004C88: 69C7C63C
	v_add_u32_e32 v228, s60, v228                              // 000000004C8C: 69C9C83C
	buffer_load_dword v182, v227, s[16:19], 0 idxen            // 000000004C90: E0502000 8004B6E3
	buffer_load_dword v183, v228, s[16:19], 0 idxen            // 000000004C98: E0502000 8004B7E4
	s_mul_i32 s60, 4, s7                                       // 000000004CA0: 923C0784
	s_cmp_lt_i32 0, s73                                        // 000000004CA4: BF044980
	s_cselect_b32 s60, s60, 0                                  // 000000004CA8: 853C803C
	v_add_u32_e32 v227, s60, v227                              // 000000004CAC: 69C7C63C
	v_add_u32_e32 v228, s60, v228                              // 000000004CB0: 69C9C83C
	buffer_load_dword v184, v227, s[16:19], 0 idxen            // 000000004CB4: E0502000 8004B8E3
	buffer_load_dword v185, v228, s[16:19], 0 idxen            // 000000004CBC: E0502000 8004B9E4
	s_mul_i32 s60, 4, s7                                       // 000000004CC4: 923C0784
	s_cmp_lt_i32 1, s73                                        // 000000004CC8: BF044981
	s_cselect_b32 s60, s60, 0                                  // 000000004CCC: 853C803C
	v_add_u32_e32 v227, s60, v227                              // 000000004CD0: 69C7C63C
	v_add_u32_e32 v228, s60, v228                              // 000000004CD4: 69C9C83C
	s_waitcnt lgkmcnt(0)                                       // 000000004CD8: BF8CC07F
	s_barrier                                                  // 000000004CDC: BF8A0000
	ds_read_b128 a[24:27], v25 offset:8704                     // 000000004CE0: DBFE2200 18000019
	ds_read_b128 a[28:31], v25 offset:8960                     // 000000004CE8: DBFE2300 1C000019
	ds_read_b128 a[32:35], v25 offset:13056                    // 000000004CF0: DBFE3300 20000019
	ds_read_b128 a[36:39], v25 offset:13312                    // 000000004CF8: DBFE3400 24000019
	ds_read_b128 a[0:3], v24                                   // 000000004D00: DBFE0000 00000018
	ds_read_b128 a[4:7], v24 offset:512                        // 000000004D08: DBFE0200 04000018
	s_waitcnt vmcnt(16) lgkmcnt(0)                             // 000000004D10: BF8C4070
	s_barrier                                                  // 000000004D14: BF8A0000
	s_cmp_lt_i32 1, s73                                        // 000000004D18: BF044981
	s_cbranch_scc1 label_0350                                  // 000000004D1C: BF850008
	v_mov_b32_e32 v186, 0                                      // 000000004D20: 7F740280
	v_mov_b32_e32 v187, 0                                      // 000000004D24: 7F760280
	v_mov_b32_e32 v188, 0                                      // 000000004D28: 7F780280
	v_mov_b32_e32 v189, 0                                      // 000000004D2C: 7F7A0280
	v_mov_b32_e32 v190, 0                                      // 000000004D30: 7F7C0280
	v_mov_b32_e32 v191, 0                                      // 000000004D34: 7F7E0280
	v_mov_b32_e32 v192, 0                                      // 000000004D38: 7F800280
	v_mov_b32_e32 v193, 0                                      // 000000004D3C: 7F820280

0000000000004d40 <label_0350>:
	v_perm_b32 v202, v187, v186, s63                           // 000000004D40: D1ED00CA 00FF75BB
	v_perm_b32 v203, v187, v186, s64                           // 000000004D48: D1ED00CB 010375BB
	v_perm_b32 v204, v189, v188, s63                           // 000000004D50: D1ED00CC 00FF79BD
	v_perm_b32 v205, v189, v188, s64                           // 000000004D58: D1ED00CD 010379BD
	v_perm_b32 v206, v191, v190, s63                           // 000000004D60: D1ED00CE 00FF7DBF
	v_perm_b32 v207, v191, v190, s64                           // 000000004D68: D1ED00CF 01037DBF
	v_perm_b32 v208, v193, v192, s63                           // 000000004D70: D1ED00D0 00FF81C1
	v_perm_b32 v209, v193, v192, s64                           // 000000004D78: D1ED00D1 010381C1
	ds_write_b32 v15, v202 offset:8704                         // 000000004D80: D81A2200 0000CA0F
	ds_write_b32 v15, v203 offset:9760                         // 000000004D88: D81A2620 0000CB0F
	ds_write_b32 v15, v204 offset:10880                        // 000000004D90: D81A2A80 0000CC0F
	ds_write_b32 v15, v205 offset:11936                        // 000000004D98: D81A2EA0 0000CD0F
	ds_write_b32 v15, v206 offset:13056                        // 000000004DA0: D81A3300 0000CE0F
	ds_write_b32 v15, v207 offset:14112                        // 000000004DA8: D81A3720 0000CF0F
	ds_write_b32 v15, v208 offset:15232                        // 000000004DB0: D81A3B80 0000D00F
	ds_write_b32 v15, v209 offset:16288                        // 000000004DB8: D81A3FA0 0000D10F
	ds_write_b32 v13, v186                                     // 000000004DC0: D81A0000 0000BA0D
	ds_write_b32 v13, v187 offset:1056                         // 000000004DC8: D81A0420 0000BB0D
	ds_write_b32 v13, v188 offset:2176                         // 000000004DD0: D81A0880 0000BC0D
	ds_write_b32 v13, v189 offset:3232                         // 000000004DD8: D81A0CA0 0000BD0D
	ds_write_b32 v13, v190 offset:4352                         // 000000004DE0: D81A1100 0000BE0D
	ds_write_b32 v13, v191 offset:5408                         // 000000004DE8: D81A1520 0000BF0D
	ds_write_b32 v13, v192 offset:6528                         // 000000004DF0: D81A1980 0000C00D
	ds_write_b32 v13, v193 offset:7584                         // 000000004DF8: D81A1DA0 0000C10D
	buffer_load_dword v186, v227, s[16:19], 0 idxen            // 000000004E00: E0502000 8004BAE3
	buffer_load_dword v187, v228, s[16:19], 0 idxen            // 000000004E08: E0502000 8004BBE4
	s_mul_i32 s60, 4, s7                                       // 000000004E10: 923C0784
	s_cmp_lt_i32 1, s73                                        // 000000004E14: BF044981
	s_cselect_b32 s60, s60, 0                                  // 000000004E18: 853C803C
	v_add_u32_e32 v227, s60, v227                              // 000000004E1C: 69C7C63C
	v_add_u32_e32 v228, s60, v228                              // 000000004E20: 69C9C83C
	buffer_load_dword v188, v227, s[16:19], 0 idxen            // 000000004E24: E0502000 8004BCE3
	buffer_load_dword v189, v228, s[16:19], 0 idxen            // 000000004E2C: E0502000 8004BDE4
	s_mul_i32 s60, 4, s7                                       // 000000004E34: 923C0784
	s_cmp_lt_i32 1, s73                                        // 000000004E38: BF044981
	s_cselect_b32 s60, s60, 0                                  // 000000004E3C: 853C803C
	v_add_u32_e32 v227, s60, v227                              // 000000004E40: 69C7C63C
	v_add_u32_e32 v228, s60, v228                              // 000000004E44: 69C9C83C
	buffer_load_dword v190, v227, s[16:19], 0 idxen            // 000000004E48: E0502000 8004BEE3
	buffer_load_dword v191, v228, s[16:19], 0 idxen            // 000000004E50: E0502000 8004BFE4
	s_mul_i32 s60, 4, s7                                       // 000000004E58: 923C0784
	s_cmp_lt_i32 1, s73                                        // 000000004E5C: BF044981
	s_cselect_b32 s60, s60, 0                                  // 000000004E60: 853C803C
	v_add_u32_e32 v227, s60, v227                              // 000000004E64: 69C7C63C
	v_add_u32_e32 v228, s60, v228                              // 000000004E68: 69C9C83C
	buffer_load_dword v192, v227, s[16:19], 0 idxen            // 000000004E6C: E0502000 8004C0E3
	buffer_load_dword v193, v228, s[16:19], 0 idxen            // 000000004E74: E0502000 8004C1E4
	s_mul_i32 s60, 4, s7                                       // 000000004E7C: 923C0784
	s_cmp_lt_i32 2, s73                                        // 000000004E80: BF044982
	s_cselect_b32 s60, s60, 0                                  // 000000004E84: 853C803C
	v_add_u32_e32 v227, s60, v227                              // 000000004E88: 69C7C63C
	v_add_u32_e32 v228, s60, v228                              // 000000004E8C: 69C9C83C
	s_waitcnt lgkmcnt(0)                                       // 000000004E90: BF8CC07F
	s_barrier                                                  // 000000004E94: BF8A0000
	ds_read_b128 a[40:43], v25 offset:8704                     // 000000004E98: DBFE2200 28000019
	ds_read_b128 a[44:47], v25 offset:8960                     // 000000004EA0: DBFE2300 2C000019
	ds_read_b128 a[48:51], v25 offset:13056                    // 000000004EA8: DBFE3300 30000019
	ds_read_b128 a[52:55], v25 offset:13312                    // 000000004EB0: DBFE3400 34000019
	ds_read_b128 a[8:11], v24                                  // 000000004EB8: DBFE0000 08000018
	ds_read_b128 a[12:15], v24 offset:512                      // 000000004EC0: DBFE0200 0C000018
	s_waitcnt vmcnt(16) lgkmcnt(0)                             // 000000004EC8: BF8C4070
	s_barrier                                                  // 000000004ECC: BF8A0000
	s_cmp_lt_i32 2, s73                                        // 000000004ED0: BF044982
	s_cbranch_scc1 label_03BE                                  // 000000004ED4: BF850008
	v_mov_b32_e32 v194, 0                                      // 000000004ED8: 7F840280
	v_mov_b32_e32 v195, 0                                      // 000000004EDC: 7F860280
	v_mov_b32_e32 v196, 0                                      // 000000004EE0: 7F880280
	v_mov_b32_e32 v197, 0                                      // 000000004EE4: 7F8A0280
	v_mov_b32_e32 v198, 0                                      // 000000004EE8: 7F8C0280
	v_mov_b32_e32 v199, 0                                      // 000000004EEC: 7F8E0280
	v_mov_b32_e32 v200, 0                                      // 000000004EF0: 7F900280
	v_mov_b32_e32 v201, 0                                      // 000000004EF4: 7F920280

0000000000004ef8 <label_03BE>:
	v_perm_b32 v202, v195, v194, s63                           // 000000004EF8: D1ED00CA 00FF85C3
	v_perm_b32 v203, v195, v194, s64                           // 000000004F00: D1ED00CB 010385C3
	v_perm_b32 v204, v197, v196, s63                           // 000000004F08: D1ED00CC 00FF89C5
	v_perm_b32 v205, v197, v196, s64                           // 000000004F10: D1ED00CD 010389C5
	v_perm_b32 v206, v199, v198, s63                           // 000000004F18: D1ED00CE 00FF8DC7
	v_perm_b32 v207, v199, v198, s64                           // 000000004F20: D1ED00CF 01038DC7
	v_perm_b32 v208, v201, v200, s63                           // 000000004F28: D1ED00D0 00FF91C9
	v_perm_b32 v209, v201, v200, s64                           // 000000004F30: D1ED00D1 010391C9
	ds_write_b32 v15, v202 offset:8704                         // 000000004F38: D81A2200 0000CA0F
	ds_write_b32 v15, v203 offset:9760                         // 000000004F40: D81A2620 0000CB0F
	ds_write_b32 v15, v204 offset:10880                        // 000000004F48: D81A2A80 0000CC0F
	ds_write_b32 v15, v205 offset:11936                        // 000000004F50: D81A2EA0 0000CD0F
	ds_write_b32 v15, v206 offset:13056                        // 000000004F58: D81A3300 0000CE0F
	ds_write_b32 v15, v207 offset:14112                        // 000000004F60: D81A3720 0000CF0F
	ds_write_b32 v15, v208 offset:15232                        // 000000004F68: D81A3B80 0000D00F
	ds_write_b32 v15, v209 offset:16288                        // 000000004F70: D81A3FA0 0000D10F
	ds_write_b32 v13, v194                                     // 000000004F78: D81A0000 0000C20D
	ds_write_b32 v13, v195 offset:1056                         // 000000004F80: D81A0420 0000C30D
	ds_write_b32 v13, v196 offset:2176                         // 000000004F88: D81A0880 0000C40D
	ds_write_b32 v13, v197 offset:3232                         // 000000004F90: D81A0CA0 0000C50D
	ds_write_b32 v13, v198 offset:4352                         // 000000004F98: D81A1100 0000C60D
	ds_write_b32 v13, v199 offset:5408                         // 000000004FA0: D81A1520 0000C70D
	ds_write_b32 v13, v200 offset:6528                         // 000000004FA8: D81A1980 0000C80D
	ds_write_b32 v13, v201 offset:7584                         // 000000004FB0: D81A1DA0 0000C90D
	buffer_load_dword v194, v227, s[16:19], 0 idxen            // 000000004FB8: E0502000 8004C2E3
	buffer_load_dword v195, v228, s[16:19], 0 idxen            // 000000004FC0: E0502000 8004C3E4
	s_mul_i32 s60, 4, s7                                       // 000000004FC8: 923C0784
	s_cmp_lt_i32 2, s73                                        // 000000004FCC: BF044982
	s_cselect_b32 s60, s60, 0                                  // 000000004FD0: 853C803C
	v_add_u32_e32 v227, s60, v227                              // 000000004FD4: 69C7C63C
	v_add_u32_e32 v228, s60, v228                              // 000000004FD8: 69C9C83C
	buffer_load_dword v196, v227, s[16:19], 0 idxen            // 000000004FDC: E0502000 8004C4E3
	buffer_load_dword v197, v228, s[16:19], 0 idxen            // 000000004FE4: E0502000 8004C5E4
	s_mul_i32 s60, 4, s7                                       // 000000004FEC: 923C0784
	s_cmp_lt_i32 2, s73                                        // 000000004FF0: BF044982
	s_cselect_b32 s60, s60, 0                                  // 000000004FF4: 853C803C
	v_add_u32_e32 v227, s60, v227                              // 000000004FF8: 69C7C63C
	v_add_u32_e32 v228, s60, v228                              // 000000004FFC: 69C9C83C
	buffer_load_dword v198, v227, s[16:19], 0 idxen            // 000000005000: E0502000 8004C6E3
	buffer_load_dword v199, v228, s[16:19], 0 idxen            // 000000005008: E0502000 8004C7E4
	s_mul_i32 s60, 4, s7                                       // 000000005010: 923C0784
	s_cmp_lt_i32 2, s73                                        // 000000005014: BF044982
	s_cselect_b32 s60, s60, 0                                  // 000000005018: 853C803C
	v_add_u32_e32 v227, s60, v227                              // 00000000501C: 69C7C63C
	v_add_u32_e32 v228, s60, v228                              // 000000005020: 69C9C83C
	buffer_load_dword v200, v227, s[16:19], 0 idxen            // 000000005024: E0502000 8004C8E3
	buffer_load_dword v201, v228, s[16:19], 0 idxen            // 00000000502C: E0502000 8004C9E4
	s_mul_i32 s60, 4, s7                                       // 000000005034: 923C0784
	s_cmp_lt_i32 3, s73                                        // 000000005038: BF044983
	s_cselect_b32 s60, s60, 0                                  // 00000000503C: 853C803C
	v_add_u32_e32 v227, s60, v227                              // 000000005040: 69C7C63C
	v_add_u32_e32 v228, s60, v228                              // 000000005044: 69C9C83C
	s_waitcnt lgkmcnt(0)                                       // 000000005048: BF8CC07F
	s_barrier                                                  // 00000000504C: BF8A0000
	ds_read_b128 a[56:59], v25 offset:8704                     // 000000005050: DBFE2200 38000019
	ds_read_b128 a[60:63], v25 offset:8960                     // 000000005058: DBFE2300 3C000019
	ds_read_b128 a[64:67], v25 offset:13056                    // 000000005060: DBFE3300 40000019
	ds_read_b128 a[68:71], v25 offset:13312                    // 000000005068: DBFE3400 44000019
	ds_read_b128 a[16:19], v24                                 // 000000005070: DBFE0000 10000018
	ds_read_b128 a[20:23], v24 offset:512                      // 000000005078: DBFE0200 14000018
	s_waitcnt vmcnt(16) lgkmcnt(0)                             // 000000005080: BF8C4070
	s_barrier                                                  // 000000005084: BF8A0000
	s_cmp_lt_i32 0, s73                                        // 000000005088: BF044980
	s_cbranch_scc1 label_042C                                  // 00000000508C: BF850008
	v_mov_b32_e32 v178, 0                                      // 000000005090: 7F640280
	v_mov_b32_e32 v179, 0                                      // 000000005094: 7F660280
	v_mov_b32_e32 v180, 0                                      // 000000005098: 7F680280
	v_mov_b32_e32 v181, 0                                      // 00000000509C: 7F6A0280
	v_mov_b32_e32 v182, 0                                      // 0000000050A0: 7F6C0280
	v_mov_b32_e32 v183, 0                                      // 0000000050A4: 7F6E0280
	v_mov_b32_e32 v184, 0                                      // 0000000050A8: 7F700280
	v_mov_b32_e32 v185, 0                                      // 0000000050AC: 7F720280

00000000000050b0 <label_042C>:
	ds_write_b32 v13, v178                                     // 0000000050B0: D81A0000 0000B20D
	ds_write_b32 v13, v179 offset:1056                         // 0000000050B8: D81A0420 0000B30D
	ds_write_b32 v13, v180 offset:2176                         // 0000000050C0: D81A0880 0000B40D
	ds_write_b32 v13, v181 offset:3232                         // 0000000050C8: D81A0CA0 0000B50D
	ds_write_b32 v13, v182 offset:4352                         // 0000000050D0: D81A1100 0000B60D
	ds_write_b32 v13, v183 offset:5408                         // 0000000050D8: D81A1520 0000B70D
	ds_write_b32 v13, v184 offset:6528                         // 0000000050E0: D81A1980 0000B80D
	ds_write_b32 v13, v185 offset:7584                         // 0000000050E8: D81A1DA0 0000B90D
	s_mov_b32 s71, s5                                          // 0000000050F0: BEC70005
	v_lshrrev_b32_e32 v32, 4, v0                               // 0000000050F4: 20400084
	v_and_b32_e32 v33, 1, v32                                  // 0000000050F8: 26424081
	v_lshlrev_b32_e32 v33, 1, v33                              // 0000000050FC: 24424281
	v_mul_i32_i24_e32 v33, s71, v33                            // 000000005100: 0C424247
	v_and_b32_e32 v34, 2, v32                                  // 000000005104: 26444082
	v_lshlrev_b32_e32 v34, 5, v34                              // 000000005108: 24444485
	v_add_u32_e32 v33, v34, v33                                // 00000000510C: 68424322
	v_and_b32_e32 v32, 15, v0                                  // 000000005110: 2640008F
	v_lshlrev_b32_e32 v32, 2, v32                              // 000000005114: 24404082
	v_add_u32_e32 v1, v32, v33                                 // 000000005118: 68024320
	s_mul_i32 s60, s46, s71                                    // 00000000511C: 923C472E
	s_mul_i32 s60, s60, 4                                      // 000000005120: 923C843C
	v_add_u32_e32 v1, s60, v1                                  // 000000005124: 6802023C
	v_add_u32_e32 v2, s71, v1                                  // 000000005128: 68040247
	s_mul_i32 s60, 16, s71                                     // 00000000512C: 923C4790
	v_add_u32_e32 v3, s60, v1                                  // 000000005130: 6806023C
	v_add_u32_e32 v4, s60, v2                                  // 000000005134: 6808043C
	s_mov_b32 s71, s51                                         // 000000005138: BEC70033
	v_lshrrev_b32_e32 v32, 4, v0                               // 00000000513C: 20400084
	v_and_b32_e32 v33, 1, v32                                  // 000000005140: 26424081
	v_lshlrev_b32_e32 v33, 1, v33                              // 000000005144: 24424281
	v_mul_i32_i24_e32 v33, s71, v33                            // 000000005148: 0C424247
	v_and_b32_e32 v34, 2, v32                                  // 00000000514C: 26444082
	v_lshlrev_b32_e32 v34, 5, v34                              // 000000005150: 24444485
	v_add_u32_e32 v33, v34, v33                                // 000000005154: 68424322
	v_and_b32_e32 v32, 15, v0                                  // 000000005158: 2640008F
	v_lshlrev_b32_e32 v32, 2, v32                              // 00000000515C: 24404082
	v_add_u32_e32 v227, v32, v33                               // 000000005160: 69C64320
	s_mul_i32 s60, s46, s71                                    // 000000005164: 923C472E
	s_mul_i32 s60, s60, 4                                      // 000000005168: 923C843C
	v_add_u32_e32 v227, s60, v227                              // 00000000516C: 69C7C63C
	v_add_u32_e32 v228, s71, v227                              // 000000005170: 69C9C647
	s_mul_i32 s60, 16, s71                                     // 000000005174: 923C4790
	v_add_u32_e32 v229, s60, v227                              // 000000005178: 69CBC63C
	v_add_u32_e32 v230, s60, v228                              // 00000000517C: 69CDC83C
	v_lshrrev_b32_e32 v1, 2, v1                                // 000000005180: 20020282
	v_lshrrev_b32_e32 v2, 2, v2                                // 000000005184: 20040482
	;; [unrolled: 1-line block ×3, first 2 shown]
	v_lshrrev_b32_e32 v4, 2, v4                                // 00000000518C: 20080882
	v_lshrrev_b32_e32 v227, 2, v227                            // 000000005190: 21C7C682
	v_lshrrev_b32_e32 v228, 2, v228                            // 000000005194: 21C9C882
	v_lshrrev_b32_e32 v229, 2, v229                            // 000000005198: 21CBCA82
	v_lshrrev_b32_e32 v230, 2, v230                            // 00000000519C: 21CDCC82
	buffer_load_dword v36, v1, s[8:11], 0 idxen                // 0000000051A0: E0502000 80022401
	buffer_load_dword v37, v2, s[8:11], 0 idxen                // 0000000051A8: E0502000 80022502
	buffer_load_dword v38, v3, s[8:11], 0 idxen                // 0000000051B0: E0502000 80022603
	buffer_load_dword v39, v4, s[8:11], 0 idxen                // 0000000051B8: E0502000 80022704
	buffer_load_dword v44, v227, s[20:23], 0 idxen             // 0000000051C0: E0502000 80052CE3
	buffer_load_dword v45, v228, s[20:23], 0 idxen             // 0000000051C8: E0502000 80052DE4
	buffer_load_dword v46, v229, s[20:23], 0 idxen             // 0000000051D0: E0502000 80052EE5
	buffer_load_dword v47, v230, s[20:23], 0 idxen             // 0000000051D8: E0502000 80052FE6
	s_waitcnt lgkmcnt(0)                                       // 0000000051E0: BF8CC07F
	s_barrier                                                  // 0000000051E4: BF8A0000
	ds_read_b128 a[72:75], v24                                 // 0000000051E8: DBFE0000 48000018
	ds_read_b128 a[76:79], v24 offset:512                      // 0000000051F0: DBFE0200 4C000018
	v_add_u32_e32 v1, s68, v1                                  // 0000000051F8: 68020244
	v_add_u32_e32 v2, s68, v2                                  // 0000000051FC: 68040444
	v_add_u32_e32 v3, s68, v3                                  // 000000005200: 68060644
	v_add_u32_e32 v4, s68, v4                                  // 000000005204: 68080844
	v_add_u32_e32 v227, s81, v227                              // 000000005208: 69C7C651
	v_add_u32_e32 v228, s81, v228                              // 00000000520C: 69C9C851
	v_add_u32_e32 v229, s81, v229                              // 000000005210: 69CBCA51
	v_add_u32_e32 v230, s81, v230                              // 000000005214: 69CDCC51
	s_waitcnt vmcnt(16) lgkmcnt(0)                             // 000000005218: BF8C4070
	s_barrier                                                  // 00000000521C: BF8A0000
	s_cmp_lt_i32 1, s73                                        // 000000005220: BF044981
	s_cbranch_scc1 label_0492                                  // 000000005224: BF850008
	v_mov_b32_e32 v186, 0                                      // 000000005228: 7F740280
	v_mov_b32_e32 v187, 0                                      // 00000000522C: 7F760280
	v_mov_b32_e32 v188, 0                                      // 000000005230: 7F780280
	v_mov_b32_e32 v189, 0                                      // 000000005234: 7F7A0280
	v_mov_b32_e32 v190, 0                                      // 000000005238: 7F7C0280
	v_mov_b32_e32 v191, 0                                      // 00000000523C: 7F7E0280
	v_mov_b32_e32 v192, 0                                      // 000000005240: 7F800280
	v_mov_b32_e32 v193, 0                                      // 000000005244: 7F820280

0000000000005248 <label_0492>:
	ds_write_b32 v13, v186                                     // 000000005248: D81A0000 0000BA0D
	ds_write_b32 v13, v187 offset:1056                         // 000000005250: D81A0420 0000BB0D
	ds_write_b32 v13, v188 offset:2176                         // 000000005258: D81A0880 0000BC0D
	ds_write_b32 v13, v189 offset:3232                         // 000000005260: D81A0CA0 0000BD0D
	ds_write_b32 v13, v190 offset:4352                         // 000000005268: D81A1100 0000BE0D
	ds_write_b32 v13, v191 offset:5408                         // 000000005270: D81A1520 0000BF0D
	ds_write_b32 v13, v192 offset:6528                         // 000000005278: D81A1980 0000C00D
	ds_write_b32 v13, v193 offset:7584                         // 000000005280: D81A1DA0 0000C10D
	buffer_load_dword v40, v1, s[8:11], 0 idxen                // 000000005288: E0502000 80022801
	buffer_load_dword v41, v2, s[8:11], 0 idxen                // 000000005290: E0502000 80022902
	buffer_load_dword v42, v3, s[8:11], 0 idxen                // 000000005298: E0502000 80022A03
	buffer_load_dword v43, v4, s[8:11], 0 idxen                // 0000000052A0: E0502000 80022B04
	buffer_load_dword v48, v227, s[20:23], 0 idxen             // 0000000052A8: E0502000 800530E3
	buffer_load_dword v49, v228, s[20:23], 0 idxen             // 0000000052B0: E0502000 800531E4
	buffer_load_dword v50, v229, s[20:23], 0 idxen             // 0000000052B8: E0502000 800532E5
	buffer_load_dword v51, v230, s[20:23], 0 idxen             // 0000000052C0: E0502000 800533E6
	s_waitcnt lgkmcnt(0)                                       // 0000000052C8: BF8CC07F
	s_barrier                                                  // 0000000052CC: BF8A0000
	ds_read_b128 a[80:83], v24                                 // 0000000052D0: DBFE0000 50000018
	ds_read_b128 a[84:87], v24 offset:512                      // 0000000052D8: DBFE0200 54000018
	s_add_u32 s60, 64, s59                                     // 0000000052E0: 803C3BC0
	s_cmp_lt_u32 s60, s58                                      // 0000000052E4: BF0A3A3C
	s_cselect_b32 s68, s68, 0                                  // 0000000052E8: 85448044
	s_cselect_b32 s81, s81, 0                                  // 0000000052EC: 85518051
	v_add_u32_e32 v1, s68, v1                                  // 0000000052F0: 68020244
	v_add_u32_e32 v2, s68, v2                                  // 0000000052F4: 68040444
	v_add_u32_e32 v3, s68, v3                                  // 0000000052F8: 68060644
	v_add_u32_e32 v4, s68, v4                                  // 0000000052FC: 68080844
	v_add_u32_e32 v227, s81, v227                              // 000000005300: 69C7C651
	v_add_u32_e32 v228, s81, v228                              // 000000005304: 69C9C851
	v_add_u32_e32 v229, s81, v229                              // 000000005308: 69CBCA51
	v_add_u32_e32 v230, s81, v230                              // 00000000530C: 69CDCC51
	s_waitcnt vmcnt(16) lgkmcnt(0)                             // 000000005310: BF8C4070
	s_barrier                                                  // 000000005314: BF8A0000
	s_cmp_lt_i32 2, s73                                        // 000000005318: BF044982
	s_cbranch_scc1 label_04D0                                  // 00000000531C: BF850008
	v_mov_b32_e32 v194, 0                                      // 000000005320: 7F840280
	v_mov_b32_e32 v195, 0                                      // 000000005324: 7F860280
	v_mov_b32_e32 v196, 0                                      // 000000005328: 7F880280
	v_mov_b32_e32 v197, 0                                      // 00000000532C: 7F8A0280
	v_mov_b32_e32 v198, 0                                      // 000000005330: 7F8C0280
	v_mov_b32_e32 v199, 0                                      // 000000005334: 7F8E0280
	v_mov_b32_e32 v200, 0                                      // 000000005338: 7F900280
	v_mov_b32_e32 v201, 0                                      // 00000000533C: 7F920280

0000000000005340 <label_04D0>:
	ds_write_b32 v13, v194                                     // 000000005340: D81A0000 0000C20D
	ds_write_b32 v13, v195 offset:1056                         // 000000005348: D81A0420 0000C30D
	ds_write_b32 v13, v196 offset:2176                         // 000000005350: D81A0880 0000C40D
	ds_write_b32 v13, v197 offset:3232                         // 000000005358: D81A0CA0 0000C50D
	ds_write_b32 v13, v198 offset:4352                         // 000000005360: D81A1100 0000C60D
	ds_write_b32 v13, v199 offset:5408                         // 000000005368: D81A1520 0000C70D
	ds_write_b32 v13, v200 offset:6528                         // 000000005370: D81A1980 0000C80D
	ds_write_b32 v13, v201 offset:7584                         // 000000005378: D81A1DA0 0000C90D
	s_waitcnt lgkmcnt(0)                                       // 000000005380: BF8CC07F
	s_barrier                                                  // 000000005384: BF8A0000
	ds_read_b128 a[88:91], v24                                 // 000000005388: DBFE0000 58000018
	ds_read_b128 a[92:95], v24 offset:512                      // 000000005390: DBFE0200 5C000018
	s_waitcnt vmcnt(8) lgkmcnt(0)                              // 000000005398: BF8C0078
	s_barrier                                                  // 00000000539C: BF8A0000
	buffer_load_dword v11, s[24:27], 0 idxen lds               // 0000000053A0: E0512000 8006000B
	s_mov_b32 m0, s75                                          // 0000000053A8: BEFC004B
	v_add_u32_e32 v11, s69, v11                                // 0000000053AC: 68161645
	v_perm_b32 v100, v37, v36, s63                             // 0000000053B0: D1ED0064 00FE4925
	v_perm_b32 v101, v37, v36, s64                             // 0000000053B8: D1ED0065 01024925
	v_perm_b32 v102, v39, v38, s63                             // 0000000053C0: D1ED0066 00FE4D27
	v_perm_b32 v103, v39, v38, s64                             // 0000000053C8: D1ED0067 01024D27
	ds_write_b32 v15, v100 offset:4352                         // 0000000053D0: D81A1100 0000640F
	ds_write_b32 v15, v101 offset:5408                         // 0000000053D8: D81A1520 0000650F
	ds_write_b32 v15, v102 offset:6528                         // 0000000053E0: D81A1980 0000660F
	ds_write_b32 v15, v103 offset:7584                         // 0000000053E8: D81A1DA0 0000670F
	ds_write_b32 v13, v36                                      // 0000000053F0: D81A0000 0000240D
	ds_write_b32 v13, v37 offset:1056                          // 0000000053F8: D81A0420 0000250D
	ds_write_b32 v13, v38 offset:2176                          // 000000005400: D81A0880 0000260D
	ds_write_b32 v13, v39 offset:3232                          // 000000005408: D81A0CA0 0000270D
	buffer_load_dword v11, s[24:27], 0 idxen lds               // 000000005410: E0512000 8006000B
	s_add_u32 s60, 64, s59                                     // 000000005418: 803C3BC0
	s_cmp_lt_u32 s60, s58                                      // 00000000541C: BF0A3A3C
	s_cselect_b32 s69, s69, 0                                  // 000000005420: 85458045
	s_mov_b32 m0, s74                                          // 000000005424: BEFC004A
	v_add_u32_e32 v11, s69, v11                                // 000000005428: 68161645
	v_perm_b32 v104, v45, v44, s63                             // 00000000542C: D1ED0068 00FE592D
	v_perm_b32 v105, v45, v44, s64                             // 000000005434: D1ED0069 0102592D
	v_perm_b32 v106, v47, v46, s63                             // 00000000543C: D1ED006A 00FE5D2F
	v_perm_b32 v107, v47, v46, s64                             // 000000005444: D1ED006B 01025D2F
	ds_write_b32 v15, v104 offset:13056                        // 00000000544C: D81A3300 0000680F
	ds_write_b32 v15, v105 offset:14112                        // 000000005454: D81A3720 0000690F
	ds_write_b32 v15, v106 offset:15232                        // 00000000545C: D81A3B80 00006A0F
	ds_write_b32 v15, v107 offset:16288                        // 000000005464: D81A3FA0 00006B0F
	ds_write_b32 v13, v44 offset:8704                          // 00000000546C: D81A2200 00002C0D
	ds_write_b32 v13, v45 offset:9760                          // 000000005474: D81A2620 00002D0D
	ds_write_b32 v13, v46 offset:10880                         // 00000000547C: D81A2A80 00002E0D
	ds_write_b32 v13, v47 offset:11936                         // 000000005484: D81A2EA0 00002F0D
	s_waitcnt vmcnt(1) lgkmcnt(0)                              // 00000000548C: BF8C0071
	s_barrier                                                  // 000000005490: BF8A0000
	ds_read_b128 a[96:99], v12                                 // 000000005494: DBFE0000 6000000C
	ds_read_b128 a[100:103], v12 offset:512                    // 00000000549C: DBFE0200 6400000C
	ds_read_b128 a[104:107], v12 offset:2176                   // 0000000054A4: DBFE0880 6800000C
	ds_read_b128 a[108:111], v12 offset:2688                   // 0000000054AC: DBFE0A80 6C00000C
	ds_read_b128 v[108:111], v12 offset:8704                   // 0000000054B4: D9FE2200 6C00000C
	ds_read_b128 v[112:115], v12 offset:9216                   // 0000000054BC: D9FE2400 7000000C
	ds_read_b128 v[116:119], v12 offset:10880                  // 0000000054C4: D9FE2A80 7400000C
	ds_read_b128 v[120:123], v12 offset:11392                  // 0000000054CC: D9FE2C80 7800000C
	ds_read_b32 v140, v23 offset:39424                         // 0000000054D4: D86C9A00 8C000017
	ds_read_b32 v144, v23 offset:39488                         // 0000000054DC: D86C9A40 90000017
	ds_read_b32 v176, v23 offset:39680                         // 0000000054E4: D86C9B00 B0000017
	ds_read_b32 v177, v23 offset:39744                         // 0000000054EC: D86C9B40 B1000017
	v_accvgpr_write_b32 a112, 0                                // 0000000054F4: D3D94070 18000080
	v_mov_b32_e32 v178, 0                                      // 0000000054FC: 7F640280
	v_accvgpr_write_b32 a113, 0                                // 000000005500: D3D94071 18000080
	v_mov_b32_e32 v179, 0                                      // 000000005508: 7F660280
	v_accvgpr_write_b32 a114, 0                                // 00000000550C: D3D94072 18000080
	v_mov_b32_e32 v180, 0                                      // 000000005514: 7F680280
	v_accvgpr_write_b32 a115, 0                                // 000000005518: D3D94073 18000080
	v_mov_b32_e32 v181, 0                                      // 000000005520: 7F6A0280
	v_accvgpr_write_b32 a116, 0                                // 000000005524: D3D94074 18000080
	v_mov_b32_e32 v182, 0                                      // 00000000552C: 7F6C0280
	v_accvgpr_write_b32 a117, 0                                // 000000005530: D3D94075 18000080
	v_mov_b32_e32 v183, 0                                      // 000000005538: 7F6E0280
	v_accvgpr_write_b32 a118, 0                                // 00000000553C: D3D94076 18000080
	v_mov_b32_e32 v184, 0                                      // 000000005544: 7F700280
	v_accvgpr_write_b32 a119, 0                                // 000000005548: D3D94077 18000080
	v_mov_b32_e32 v185, 0                                      // 000000005550: 7F720280
	v_accvgpr_write_b32 a120, 0                                // 000000005554: D3D94078 18000080
	v_mov_b32_e32 v186, 0                                      // 00000000555C: 7F740280
	v_accvgpr_write_b32 a121, 0                                // 000000005560: D3D94079 18000080
	v_mov_b32_e32 v187, 0                                      // 000000005568: 7F760280
	v_accvgpr_write_b32 a122, 0                                // 00000000556C: D3D9407A 18000080
	v_mov_b32_e32 v188, 0                                      // 000000005574: 7F780280
	v_accvgpr_write_b32 a123, 0                                // 000000005578: D3D9407B 18000080
	v_mov_b32_e32 v189, 0                                      // 000000005580: 7F7A0280
	v_accvgpr_write_b32 a124, 0                                // 000000005584: D3D9407C 18000080
	v_mov_b32_e32 v190, 0                                      // 00000000558C: 7F7C0280
	v_accvgpr_write_b32 a125, 0                                // 000000005590: D3D9407D 18000080
	v_mov_b32_e32 v191, 0                                      // 000000005598: 7F7E0280
	v_accvgpr_write_b32 a126, 0                                // 00000000559C: D3D9407E 18000080
	v_mov_b32_e32 v192, 0                                      // 0000000055A4: 7F800280
	v_accvgpr_write_b32 a127, 0                                // 0000000055A8: D3D9407F 18000080
	v_mov_b32_e32 v193, 0                                      // 0000000055B0: 7F820280
	v_accvgpr_write_b32 a128, 0                                // 0000000055B4: D3D94080 18000080
	v_mov_b32_e32 v194, 0                                      // 0000000055BC: 7F840280
	v_accvgpr_write_b32 a129, 0                                // 0000000055C0: D3D94081 18000080
	v_mov_b32_e32 v195, 0                                      // 0000000055C8: 7F860280
	v_accvgpr_write_b32 a130, 0                                // 0000000055CC: D3D94082 18000080
	v_mov_b32_e32 v196, 0                                      // 0000000055D4: 7F880280
	v_accvgpr_write_b32 a131, 0                                // 0000000055D8: D3D94083 18000080
	v_mov_b32_e32 v197, 0                                      // 0000000055E0: 7F8A0280
	v_accvgpr_write_b32 a132, 0                                // 0000000055E4: D3D94084 18000080
	v_mov_b32_e32 v198, 0                                      // 0000000055EC: 7F8C0280
	v_accvgpr_write_b32 a133, 0                                // 0000000055F0: D3D94085 18000080
	v_mov_b32_e32 v199, 0                                      // 0000000055F8: 7F8E0280
	v_accvgpr_write_b32 a134, 0                                // 0000000055FC: D3D94086 18000080
	v_mov_b32_e32 v200, 0                                      // 000000005604: 7F900280
	v_accvgpr_write_b32 a135, 0                                // 000000005608: D3D94087 18000080
	v_mov_b32_e32 v201, 0                                      // 000000005610: 7F920280
	v_accvgpr_write_b32 a136, 0                                // 000000005614: D3D94088 18000080
	v_mov_b32_e32 v202, 0                                      // 00000000561C: 7F940280
	v_accvgpr_write_b32 a137, 0                                // 000000005620: D3D94089 18000080
	v_mov_b32_e32 v203, 0                                      // 000000005628: 7F960280
	v_accvgpr_write_b32 a138, 0                                // 00000000562C: D3D9408A 18000080
	v_mov_b32_e32 v204, 0                                      // 000000005634: 7F980280
	v_accvgpr_write_b32 a139, 0                                // 000000005638: D3D9408B 18000080
	v_mov_b32_e32 v205, 0                                      // 000000005640: 7F9A0280
	v_accvgpr_write_b32 a140, 0                                // 000000005644: D3D9408C 18000080
	v_mov_b32_e32 v206, 0                                      // 00000000564C: 7F9C0280
	v_accvgpr_write_b32 a141, 0                                // 000000005650: D3D9408D 18000080
	v_mov_b32_e32 v207, 0                                      // 000000005658: 7F9E0280
	v_accvgpr_write_b32 a142, 0                                // 00000000565C: D3D9408E 18000080
	v_mov_b32_e32 v208, 0                                      // 000000005664: 7FA00280
	v_accvgpr_write_b32 a143, 0                                // 000000005668: D3D9408F 18000080
	v_mov_b32_e32 v209, 0                                      // 000000005670: 7FA20280
	v_accvgpr_write_b32 a144, 0                                // 000000005674: D3D94090 18000080
	v_mov_b32_e32 v210, 0                                      // 00000000567C: 7FA40280
	v_accvgpr_write_b32 a145, 0                                // 000000005680: D3D94091 18000080
	v_mov_b32_e32 v211, 0                                      // 000000005688: 7FA60280
	v_accvgpr_write_b32 a146, 0                                // 00000000568C: D3D94092 18000080
	v_mov_b32_e32 v212, 0                                      // 000000005694: 7FA80280
	v_accvgpr_write_b32 a147, 0                                // 000000005698: D3D94093 18000080
	v_mov_b32_e32 v213, 0                                      // 0000000056A0: 7FAA0280
	v_accvgpr_write_b32 a148, 0                                // 0000000056A4: D3D94094 18000080
	v_mov_b32_e32 v214, 0                                      // 0000000056AC: 7FAC0280
	v_accvgpr_write_b32 a149, 0                                // 0000000056B0: D3D94095 18000080
	v_mov_b32_e32 v215, 0                                      // 0000000056B8: 7FAE0280
	v_accvgpr_write_b32 a150, 0                                // 0000000056BC: D3D94096 18000080
	v_mov_b32_e32 v216, 0                                      // 0000000056C4: 7FB00280
	v_accvgpr_write_b32 a151, 0                                // 0000000056C8: D3D94097 18000080
	v_mov_b32_e32 v217, 0                                      // 0000000056D0: 7FB20280
	v_accvgpr_write_b32 a152, 0                                // 0000000056D4: D3D94098 18000080
	v_mov_b32_e32 v218, 0                                      // 0000000056DC: 7FB40280
	v_accvgpr_write_b32 a153, 0                                // 0000000056E0: D3D94099 18000080
	v_mov_b32_e32 v219, 0                                      // 0000000056E8: 7FB60280
	v_accvgpr_write_b32 a154, 0                                // 0000000056EC: D3D9409A 18000080
	v_mov_b32_e32 v220, 0                                      // 0000000056F4: 7FB80280
	v_accvgpr_write_b32 a155, 0                                // 0000000056F8: D3D9409B 18000080
	v_mov_b32_e32 v221, 0                                      // 000000005700: 7FBA0280
	v_accvgpr_write_b32 a156, 0                                // 000000005704: D3D9409C 18000080
	v_mov_b32_e32 v222, 0                                      // 00000000570C: 7FBC0280
	v_accvgpr_write_b32 a157, 0                                // 000000005710: D3D9409D 18000080
	v_mov_b32_e32 v223, 0                                      // 000000005718: 7FBE0280
	v_accvgpr_write_b32 a158, 0                                // 00000000571C: D3D9409E 18000080
	v_mov_b32_e32 v224, 0                                      // 000000005724: 7FC00280
	v_accvgpr_write_b32 a159, 0                                // 000000005728: D3D9409F 18000080
	v_mov_b32_e32 v225, 0                                      // 000000005730: 7FC20280
	v_mov_b32_e32 v156, 0                                      // 000000005734: 7F380280
	v_mov_b32_e32 v157, 0                                      // 000000005738: 7F3A0280
	v_mov_b32_e32 v158, 0                                      // 00000000573C: 7F3C0280
	v_mov_b32_e32 v159, 0                                      // 000000005740: 7F3E0280
	v_mov_b32_e32 v160, 0                                      // 000000005744: 7F400280
	v_mov_b32_e32 v161, 0                                      // 000000005748: 7F420280
	v_mov_b32_e32 v162, 0                                      // 00000000574C: 7F440280
	v_mov_b32_e32 v163, 0                                      // 000000005750: 7F460280
	v_mov_b32_e32 v148, 0                                      // 000000005754: 7F280280
	v_mov_b32_e32 v149, 0                                      // 000000005758: 7F2A0280
	v_mov_b32_e32 v150, 0                                      // 00000000575C: 7F2C0280
	v_mov_b32_e32 v151, 0                                      // 000000005760: 7F2E0280
	v_mov_b32_e32 v152, 0                                      // 000000005764: 7F300280
	v_mov_b32_e32 v153, 0                                      // 000000005768: 7F320280
	v_mov_b32_e32 v154, 0                                      // 00000000576C: 7F340280
	v_mov_b32_e32 v155, 0                                      // 000000005770: 7F360280
	s_waitcnt lgkmcnt(0)                                       // 000000005774: BF8CC07F
	s_barrier                                                  // 000000005778: BF8A0000
	buffer_load_dword v36, v1, s[8:11], 0 idxen                // 00000000577C: E0502000 80022401
	buffer_load_dword v37, v2, s[8:11], 0 idxen                // 000000005784: E0502000 80022502
	buffer_load_dword v38, v3, s[8:11], 0 idxen                // 00000000578C: E0502000 80022603
	buffer_load_dword v39, v4, s[8:11], 0 idxen                // 000000005794: E0502000 80022704
	buffer_load_dword v44, v227, s[20:23], 0 idxen             // 00000000579C: E0502000 80052CE3
	buffer_load_dword v45, v228, s[20:23], 0 idxen             // 0000000057A4: E0502000 80052DE4
	buffer_load_dword v46, v229, s[20:23], 0 idxen             // 0000000057AC: E0502000 80052EE5
	buffer_load_dword v47, v230, s[20:23], 0 idxen             // 0000000057B4: E0502000 80052FE6
	buffer_load_dword v11, s[24:27], 0 idxen lds               // 0000000057BC: E0512000 8006000B
	s_add_u32 s60, 0x60, s59                                   // 0000000057C4: 803C3BFF 00000060
	s_cmp_lt_u32 s60, s58                                      // 0000000057CC: BF0A3A3C
	s_cselect_b32 s68, s68, 0                                  // 0000000057D0: 85448044
	s_cselect_b32 s81, s81, 0                                  // 0000000057D4: 85518051
	s_cselect_b32 s69, s69, 0                                  // 0000000057D8: 85458045
	s_mov_b32 m0, s75                                          // 0000000057DC: BEFC004B
	v_add_u32_e32 v11, s69, v11                                // 0000000057E0: 68161645
	v_add_u32_e32 v1, s68, v1                                  // 0000000057E4: 68020244
	v_add_u32_e32 v2, s68, v2                                  // 0000000057E8: 68040444
	v_add_u32_e32 v3, s68, v3                                  // 0000000057EC: 68060644
	v_add_u32_e32 v4, s68, v4                                  // 0000000057F0: 68080844
	v_add_u32_e32 v227, s81, v227                              // 0000000057F4: 69C7C651
	v_add_u32_e32 v228, s81, v228                              // 0000000057F8: 69C9C851
	v_add_u32_e32 v229, s81, v229                              // 0000000057FC: 69CBCA51
	v_add_u32_e32 v230, s81, v230                              // 000000005800: 69CDCC51
	v_mul_f32_e32 v140, s48, v140                              // 000000005804: 0B191830
	v_mul_f32_e32 v144, s48, v144                              // 000000005808: 0B212030
	v_perm_b32 v100, v41, v40, s63                             // 00000000580C: D1ED0064 00FE5129
	v_perm_b32 v101, v41, v40, s64                             // 000000005814: D1ED0065 01025129
	v_perm_b32 v102, v43, v42, s63                             // 00000000581C: D1ED0066 00FE552B
	v_perm_b32 v103, v43, v42, s64                             // 000000005824: D1ED0067 0102552B
	v_perm_b32 v104, v49, v48, s63                             // 00000000582C: D1ED0068 00FE6131
	v_perm_b32 v105, v49, v48, s64                             // 000000005834: D1ED0069 01026131
	v_perm_b32 v106, v51, v50, s63                             // 00000000583C: D1ED006A 00FE6533
	v_perm_b32 v107, v51, v50, s64                             // 000000005844: D1ED006B 01026533
	v_mov_b32_dpp v143, v140 quad_perm:[3,3,3,3] row_mask:0xf bank_mask:0xf// 00000000584C: 7F1E02FA FF00FF8C
	v_mov_b32_dpp v142, v140 quad_perm:[2,2,2,2] row_mask:0xf bank_mask:0xf// 000000005854: 7F1C02FA FF00AA8C
	v_mov_b32_dpp v141, v140 quad_perm:[1,1,1,1] row_mask:0xf bank_mask:0xf// 00000000585C: 7F1A02FA FF00558C
	v_mov_b32_dpp v140, v140 quad_perm:[0,0,0,0] row_mask:0xf bank_mask:0xf// 000000005864: 7F1802FA FF00008C
	v_mov_b32_dpp v147, v144 quad_perm:[3,3,3,3] row_mask:0xf bank_mask:0xf// 00000000586C: 7F2602FA FF00FF90
	v_mov_b32_dpp v146, v144 quad_perm:[2,2,2,2] row_mask:0xf bank_mask:0xf// 000000005874: 7F2402FA FF00AA90
	v_mov_b32_dpp v145, v144 quad_perm:[1,1,1,1] row_mask:0xf bank_mask:0xf// 00000000587C: 7F2202FA FF005590
	v_mov_b32_dpp v144, v144 quad_perm:[0,0,0,0] row_mask:0xf bank_mask:0xf// 000000005884: 7F2002FA FF000090
	s_waitcnt vmcnt(9)                                         // 00000000588C: BF8C0F79
	s_barrier                                                  // 000000005890: BF8A0000
	s_cmp_lt_i32 s46, 2                                        // 000000005894: BF04822E
	s_cbranch_scc0 label_0CC1                                  // 000000005898: BF840688
	s_nop 0                                                    // 00000000589C: BF800000
	s_nop 0                                                    // 0000000058A0: BF800000

00000000000058a4 <label_0629>:
	s_waitcnt lgkmcnt(4)                                       // 0000000058A4: BF8CC47F
	s_barrier                                                  // 0000000058A8: BF8A0000
	v_mfma_f32_16x16x16_f16 v[52:55], a[96:97], a[0:1], 0      // 0000000058AC: D3CD0034 1A020160
	ds_write_b32 v13, v48 offset:8704                          // 0000000058B4: D81A2200 0000300D
	ds_write_b32 v13, v49 offset:9760                          // 0000000058BC: D81A2620 0000310D
	v_mfma_f32_16x16x16_f16 v[52:55], a[98:99], a[2:3], v[52:55]// 0000000058C4: D3CD0034 1CD20562
	v_mul_f32_e32 v148, s47, v148                              // 0000000058CC: 0B29282F
	v_mul_f32_e32 v149, s47, v149                              // 0000000058D0: 0B2B2A2F
	v_mfma_f32_16x16x16_f16 v[52:55], a[100:101], a[4:5], v[52:55]// 0000000058D4: D3CD0034 1CD20964
	ds_write_b32 v13, v50 offset:10880                         // 0000000058DC: D81A2A80 0000320D
	ds_write_b32 v13, v51 offset:11936                         // 0000000058E4: D81A2EA0 0000330D
	v_mfma_f32_16x16x16_f16 v[52:55], a[102:103], a[6:7], v[52:55]// 0000000058EC: D3CD0034 1CD20D66
	v_mul_f32_e32 v150, s47, v150                              // 0000000058F4: 0B2D2C2F
	v_mul_f32_e32 v151, s47, v151                              // 0000000058F8: 0B2F2E2F
	v_mfma_f32_16x16x16_f16 v[56:59], a[96:97], a[8:9], 0      // 0000000058FC: D3CD0038 1A021160
	ds_write_b64 v22, v[148:149] offset:31232                  // 000000005904: D89A7A00 00009416
	v_mfma_f32_16x16x16_f16 v[56:59], a[98:99], a[10:11], v[56:59]// 00000000590C: D3CD0038 1CE21562
	v_mul_f32_e32 v152, s47, v152                              // 000000005914: 0B31302F
	v_mul_f32_e32 v153, s47, v153                              // 000000005918: 0B33322F
	v_mfma_f32_16x16x16_f16 v[56:59], a[100:101], a[12:13], v[56:59]// 00000000591C: D3CD0038 1CE21964
	ds_write_b64 v22, v[150:151] offset:31744                  // 000000005924: D89A7C00 00009616
	v_mfma_f32_16x16x16_f16 v[56:59], a[102:103], a[14:15], v[56:59]// 00000000592C: D3CD0038 1CE21D66
	v_mul_f32_e32 v154, s47, v154                              // 000000005934: 0B35342F
	v_mul_f32_e32 v155, s47, v155                              // 000000005938: 0B37362F
	v_mfma_f32_16x16x16_f16 v[60:63], a[96:97], a[16:17], 0    // 00000000593C: D3CD003C 1A022160
	ds_write_b64 v22, v[152:153] offset:32256                  // 000000005944: D89A7E00 00009816
	v_mfma_f32_16x16x16_f16 v[60:63], a[98:99], a[18:19], v[60:63]// 00000000594C: D3CD003C 1CF22562
	buffer_atomic_add_f32 v160, v8, s[32:35], 0 idxen          // 000000005954: E1342000 8008A008
	v_mfma_f32_16x16x16_f16 v[60:63], a[100:101], a[20:21], v[60:63]// 00000000595C: D3CD003C 1CF22964
	ds_write_b64 v22, v[154:155] offset:32768                  // 000000005964: D89A8000 00009A16
	v_mfma_f32_16x16x16_f16 v[60:63], a[102:103], a[22:23], v[60:63]// 00000000596C: D3CD003C 1CF22D66
	v_mfma_f32_16x16x16_f16 v[64:67], a[104:105], a[0:1], 0    // 000000005974: D3CD0040 1A020168
	ds_read_b128 v[124:127], v14 offset:13056                  // 00000000597C: D9FE3300 7C00000E
	ds_write_b32 v13, v40                                      // 000000005984: D81A0000 0000280D
	v_mfma_f32_16x16x16_f16 v[64:67], a[106:107], a[2:3], v[64:67]// 00000000598C: D3CD0040 1D02056A
	buffer_atomic_add_f32 v161, v9, s[32:35], 0 idxen          // 000000005994: E1342000 8008A109
	v_mfma_f32_16x16x16_f16 v[64:67], a[108:109], a[4:5], v[64:67]// 00000000599C: D3CD0040 1D02096C
	v_mfma_f32_16x16x16_f16 v[64:67], a[110:111], a[6:7], v[64:67]// 0000000059A4: D3CD0040 1D020D6E
	ds_read_b128 v[128:131], v14 offset:13568                  // 0000000059AC: D9FE3500 8000000E
	ds_write_b32 v13, v41 offset:1056                          // 0000000059B4: D81A0420 0000290D
	v_mfma_f32_16x16x16_f16 v[68:71], a[104:105], a[8:9], 0    // 0000000059BC: D3CD0044 1A021168
	buffer_atomic_add_f32 v162, v8, s[32:35], 0 idxen offset:128// 0000000059C4: E1342080 8008A208
	v_mfma_f32_16x16x16_f16 v[68:71], a[106:107], a[10:11], v[68:71]// 0000000059CC: D3CD0044 1D12156A
	v_mfma_f32_16x16x16_f16 v[68:71], a[108:109], a[12:13], v[68:71]// 0000000059D4: D3CD0044 1D12196C
	ds_read_b128 v[132:135], v14 offset:15232                  // 0000000059DC: D9FE3B80 8400000E
	ds_write_b32 v13, v42 offset:2176                          // 0000000059E4: D81A0880 00002A0D
	v_mfma_f32_16x16x16_f16 v[68:71], a[110:111], a[14:15], v[68:71]// 0000000059EC: D3CD0044 1D121D6E
	v_mfma_f32_16x16x16_f16 v[72:75], a[104:105], a[16:17], 0  // 0000000059F4: D3CD0048 1A022168
	buffer_atomic_add_f32 v163, v9, s[32:35], 0 idxen offset:128// 0000000059FC: E1342080 8008A309
	v_mfma_f32_16x16x16_f16 v[72:75], a[106:107], a[18:19], v[72:75]// 000000005A04: D3CD0048 1D22256A
	ds_read_b128 v[136:139], v14 offset:15744                  // 000000005A0C: D9FE3D80 8800000E
	ds_write_b32 v13, v43 offset:3232                          // 000000005A14: D81A0CA0 00002B0D
	v_mfma_f32_16x16x16_f16 v[72:75], a[108:109], a[20:21], v[72:75]// 000000005A1C: D3CD0048 1D22296C
	v_mfma_f32_16x16x16_f16 v[72:75], a[110:111], a[22:23], v[72:75]// 000000005A24: D3CD0048 1D222D6E
	s_cmp_lt_i32 s83, 0xc0                                     // 000000005A2C: BF04FF53 000000C0
	s_cbranch_scc0 label_0704                                  // 000000005A34: BF84006D
	s_cmp_le_i32 s83, 64                                       // 000000005A38: BF05C053
	s_cbranch_scc1 label_0697                                  // 000000005A3C: BF850007
	s_cmp_le_i32 s83, 0x80                                     // 000000005A40: BF05FF53 00000080
	s_cbranch_scc1 label_06BB                                  // 000000005A48: BF85001F
	s_cmp_lt_i32 s83, 0xc0                                     // 000000005A4C: BF04FF53 000000C0
	s_cbranch_scc1 label_06DF                                  // 000000005A54: BF850040
	s_branch label_0704                                        // 000000005A58: BF820064

0000000000005a5c <label_0697>:
	s_mov_b32 s60, 0                                           // 000000005A5C: BEBC0080
	v_and_b32_e32 v32, 15, v0                                  // 000000005A60: 2640008F
	v_add_u32_e64 v32, v32, s60                                // 000000005A64: D1340020 00007920
	v_mul_i32_i24_e64 v33, s46, 16                             // 000000005A6C: D1060021 0001202E
	v_add_u32_e32 v32, v32, v33                                // 000000005A74: 68404320
	v_cmp_lt_u32_e64 s[60:61], v32, s83                        // 000000005A78: D0C9003C 0000A720
	s_nop 1                                                    // 000000005A80: BF800001
	v_cndmask_b32_e64 v52, v226, v52, s[60:61]                 // 000000005A84: D1000034 00F269E2
	v_cndmask_b32_e64 v64, v226, v64, s[60:61]                 // 000000005A8C: D1000040 00F281E2
	v_cndmask_b32_e64 v53, v226, v53, s[60:61]                 // 000000005A94: D1000035 00F26BE2
	v_cndmask_b32_e64 v65, v226, v65, s[60:61]                 // 000000005A9C: D1000041 00F283E2
	v_cndmask_b32_e64 v54, v226, v54, s[60:61]                 // 000000005AA4: D1000036 00F26DE2
	v_cndmask_b32_e64 v66, v226, v66, s[60:61]                 // 000000005AAC: D1000042 00F285E2
	v_cndmask_b32_e64 v55, v226, v55, s[60:61]                 // 000000005AB4: D1000037 00F26FE2
	v_cndmask_b32_e64 v67, v226, v67, s[60:61]                 // 000000005ABC: D1000043 00F287E2
	s_branch label_06D6                                        // 000000005AC4: BF82001B

0000000000005ac8 <label_06BB>:
	s_mov_b32 s60, 64                                          // 000000005AC8: BEBC00C0
	v_and_b32_e32 v32, 15, v0                                  // 000000005ACC: 2640008F
	v_add_u32_e64 v32, v32, s60                                // 000000005AD0: D1340020 00007920
	v_mul_i32_i24_e64 v33, s46, 16                             // 000000005AD8: D1060021 0001202E
	v_add_u32_e32 v32, v32, v33                                // 000000005AE0: 68404320
	v_cmp_lt_u32_e64 s[60:61], v32, s83                        // 000000005AE4: D0C9003C 0000A720
	s_nop 1                                                    // 000000005AEC: BF800001
	v_cndmask_b32_e64 v56, v226, v56, s[60:61]                 // 000000005AF0: D1000038 00F271E2
	v_cndmask_b32_e64 v68, v226, v68, s[60:61]                 // 000000005AF8: D1000044 00F289E2
	v_cndmask_b32_e64 v57, v226, v57, s[60:61]                 // 000000005B00: D1000039 00F273E2
	v_cndmask_b32_e64 v69, v226, v69, s[60:61]                 // 000000005B08: D1000045 00F28BE2
	v_cndmask_b32_e64 v58, v226, v58, s[60:61]                 // 000000005B10: D100003A 00F275E2
	v_cndmask_b32_e64 v70, v226, v70, s[60:61]                 // 000000005B18: D1000046 00F28DE2
	v_cndmask_b32_e64 v59, v226, v59, s[60:61]                 // 000000005B20: D100003B 00F277E2
	v_cndmask_b32_e64 v71, v226, v71, s[60:61]                 // 000000005B28: D1000047 00F28FE2
	s_branch label_06FB                                        // 000000005B30: BF820025

0000000000005b34 <label_06D6>:
	v_mov_b32_e32 v56, v226                                    // 000000005B34: 7E7003E2
	v_mov_b32_e32 v68, v226                                    // 000000005B38: 7E8803E2
	v_mov_b32_e32 v57, v226                                    // 000000005B3C: 7E7203E2
	v_mov_b32_e32 v69, v226                                    // 000000005B40: 7E8A03E2
	v_mov_b32_e32 v58, v226                                    // 000000005B44: 7E7403E2
	v_mov_b32_e32 v70, v226                                    // 000000005B48: 7E8C03E2
	v_mov_b32_e32 v59, v226                                    // 000000005B4C: 7E7603E2
	v_mov_b32_e32 v71, v226                                    // 000000005B50: 7E8E03E2
	s_branch label_06FB                                        // 000000005B54: BF82001C

0000000000005b58 <label_06DF>:
	s_mov_b32 s60, 0x80                                        // 000000005B58: BEBC00FF 00000080
	v_and_b32_e32 v32, 15, v0                                  // 000000005B60: 2640008F
	v_add_u32_e64 v32, v32, s60                                // 000000005B64: D1340020 00007920
	v_mul_i32_i24_e64 v33, s46, 16                             // 000000005B6C: D1060021 0001202E
	v_add_u32_e32 v32, v32, v33                                // 000000005B74: 68404320
	v_cmp_lt_u32_e64 s[60:61], v32, s83                        // 000000005B78: D0C9003C 0000A720
	s_nop 1                                                    // 000000005B80: BF800001
	v_cndmask_b32_e64 v60, v226, v60, s[60:61]                 // 000000005B84: D100003C 00F279E2
	v_cndmask_b32_e64 v72, v226, v72, s[60:61]                 // 000000005B8C: D1000048 00F291E2
	v_cndmask_b32_e64 v61, v226, v61, s[60:61]                 // 000000005B94: D100003D 00F27BE2
	v_cndmask_b32_e64 v73, v226, v73, s[60:61]                 // 000000005B9C: D1000049 00F293E2
	v_cndmask_b32_e64 v62, v226, v62, s[60:61]                 // 000000005BA4: D100003E 00F27DE2
	v_cndmask_b32_e64 v74, v226, v74, s[60:61]                 // 000000005BAC: D100004A 00F295E2
	v_cndmask_b32_e64 v63, v226, v63, s[60:61]                 // 000000005BB4: D100003F 00F27FE2
	v_cndmask_b32_e64 v75, v226, v75, s[60:61]                 // 000000005BBC: D100004B 00F297E2
	s_branch label_0704                                        // 000000005BC4: BF820009

0000000000005bc8 <label_06FB>:
	v_mov_b32_e32 v60, v226                                    // 000000005BC8: 7E7803E2
	v_mov_b32_e32 v72, v226                                    // 000000005BCC: 7E9003E2
	v_mov_b32_e32 v61, v226                                    // 000000005BD0: 7E7A03E2
	v_mov_b32_e32 v73, v226                                    // 000000005BD4: 7E9203E2
	v_mov_b32_e32 v62, v226                                    // 000000005BD8: 7E7C03E2
	v_mov_b32_e32 v74, v226                                    // 000000005BDC: 7E9403E2
	v_mov_b32_e32 v63, v226                                    // 000000005BE0: 7E7E03E2
	v_mov_b32_e32 v75, v226                                    // 000000005BE4: 7E9603E2
	s_branch label_0704                                        // 000000005BE8: BF820000

0000000000005bec <label_0704>:
	s_waitcnt lgkmcnt(8)                                       // 000000005BEC: BF8CC87F
	s_barrier                                                  // 000000005BF0: BF8A0000
	v_mfma_f32_16x16x16_f16 v[76:79], v[108:109], a[72:73], 0  // 000000005BF4: D3CD004C 1202916C
	ds_read_b128 a[96:99], v14 offset:4352                     // 000000005BFC: DBFE1100 6000000E
	ds_read_b128 a[100:103], v14 offset:4864                   // 000000005C04: DBFE1300 6400000E
	v_mfma_f32_16x16x16_f16 v[76:79], v[110:111], a[74:75], v[76:79]// 000000005C0C: D3CD004C 1532956E
	v_fma_f32 v52, v52, s57, -v140                             // 000000005C14: D1CB0034 86307334
	v_fma_f32 v53, v53, s57, -v141                             // 000000005C1C: D1CB0035 86347335
	v_fma_f32 v54, v54, s57, -v142                             // 000000005C24: D1CB0036 86387336
	v_fma_f32 v55, v55, s57, -v143                             // 000000005C2C: D1CB0037 863C7337
	v_fma_f32 v56, v56, s57, -v140                             // 000000005C34: D1CB0038 86307338
	v_fma_f32 v57, v57, s57, -v141                             // 000000005C3C: D1CB0039 86347339
	v_mfma_f32_16x16x16_f16 v[76:79], v[112:113], a[76:77], v[76:79]// 000000005C44: D3CD004C 15329970
	v_fma_f32 v58, v58, s57, -v142                             // 000000005C4C: D1CB003A 8638733A
	v_fma_f32 v59, v59, s57, -v143                             // 000000005C54: D1CB003B 863C733B
	v_fma_f32 v60, v60, s57, -v140                             // 000000005C5C: D1CB003C 8630733C
	v_fma_f32 v61, v61, s57, -v141                             // 000000005C64: D1CB003D 8634733D
	v_fma_f32 v62, v62, s57, -v142                             // 000000005C6C: D1CB003E 8638733E
	v_fma_f32 v63, v63, s57, -v143                             // 000000005C74: D1CB003F 863C733F
	v_mfma_f32_16x16x16_f16 v[76:79], v[114:115], a[78:79], v[76:79]// 000000005C7C: D3CD004C 15329D72
	v_fma_f32 v64, v64, s57, -v144                             // 000000005C84: D1CB0040 86407340
	v_fma_f32 v65, v65, s57, -v145                             // 000000005C8C: D1CB0041 86447341
	v_fma_f32 v66, v66, s57, -v146                             // 000000005C94: D1CB0042 86487342
	v_fma_f32 v67, v67, s57, -v147                             // 000000005C9C: D1CB0043 864C7343
	v_fma_f32 v68, v68, s57, -v144                             // 000000005CA4: D1CB0044 86407344
	v_fma_f32 v69, v69, s57, -v145                             // 000000005CAC: D1CB0045 86447345
	v_mfma_f32_16x16x16_f16 v[80:83], v[108:109], a[80:81], 0  // 000000005CB4: D3CD0050 1202A16C
	ds_read_b128 a[104:107], v14 offset:6528                   // 000000005CBC: DBFE1980 6800000E
	ds_read_b128 a[108:111], v14 offset:7040                   // 000000005CC4: DBFE1B80 6C00000E
	v_mfma_f32_16x16x16_f16 v[80:83], v[110:111], a[82:83], v[80:83]// 000000005CCC: D3CD0050 1542A56E
	v_fma_f32 v70, v70, s57, -v146                             // 000000005CD4: D1CB0046 86487346
	v_fma_f32 v71, v71, s57, -v147                             // 000000005CDC: D1CB0047 864C7347
	v_fma_f32 v72, v72, s57, -v144                             // 000000005CE4: D1CB0048 86407348
	v_fma_f32 v73, v73, s57, -v145                             // 000000005CEC: D1CB0049 86447349
	v_fma_f32 v74, v74, s57, -v146                             // 000000005CF4: D1CB004A 8648734A
	v_fma_f32 v75, v75, s57, -v147                             // 000000005CFC: D1CB004B 864C734B
	v_mfma_f32_16x16x16_f16 v[80:83], v[112:113], a[84:85], v[80:83]// 000000005D04: D3CD0050 1542A970
	v_exp_f32_e32 v52, v52                                     // 000000005D0C: 7E684134
	v_exp_f32_e32 v53, v53                                     // 000000005D10: 7E6A4135
	v_mfma_f32_16x16x16_f16 v[80:83], v[114:115], a[86:87], v[80:83]// 000000005D14: D3CD0050 1542AD72
	v_exp_f32_e32 v54, v54                                     // 000000005D1C: 7E6C4136
	v_exp_f32_e32 v55, v55                                     // 000000005D20: 7E6E4137
	v_mfma_f32_16x16x16_f16 v[84:87], v[108:109], a[88:89], 0  // 000000005D24: D3CD0054 1202B16C
	ds_read_b64 v[156:157], v21 offset:31232                   // 000000005D2C: D8EC7A00 9C000015
	ds_read_b64 v[158:159], v21 offset:33280                   // 000000005D34: D8EC8200 9E000015
	v_mfma_f32_16x16x16_f16 v[84:87], v[110:111], a[90:91], v[84:87]// 000000005D3C: D3CD0054 1552B56E
	v_exp_f32_e32 v56, v56                                     // 000000005D44: 7E704138
	v_exp_f32_e32 v57, v57                                     // 000000005D48: 7E724139
	v_mfma_f32_16x16x16_f16 v[84:87], v[112:113], a[92:93], v[84:87]// 000000005D4C: D3CD0054 1552B970
	ds_read_b64 v[160:161], v21 offset:35328                   // 000000005D54: D8EC8A00 A0000015
	ds_read_b64 v[162:163], v21 offset:37376                   // 000000005D5C: D8EC9200 A2000015
	v_mfma_f32_16x16x16_f16 v[84:87], v[114:115], a[94:95], v[84:87]// 000000005D64: D3CD0054 1552BD72
	v_exp_f32_e32 v58, v58                                     // 000000005D6C: 7E74413A
	v_exp_f32_e32 v59, v59                                     // 000000005D70: 7E76413B
	v_mfma_f32_16x16x16_f16 v[88:91], v[116:117], a[72:73], 0  // 000000005D74: D3CD0058 12029174
	v_exp_f32_e32 v60, v60                                     // 000000005D7C: 7E78413C
	v_exp_f32_e32 v61, v61                                     // 000000005D80: 7E7A413D
	v_mfma_f32_16x16x16_f16 v[88:91], v[118:119], a[74:75], v[88:91]// 000000005D84: D3CD0058 15629576
	v_exp_f32_e32 v62, v62                                     // 000000005D8C: 7E7C413E
	v_exp_f32_e32 v63, v63                                     // 000000005D90: 7E7E413F
	v_mfma_f32_16x16x16_f16 v[88:91], v[120:121], a[76:77], v[88:91]// 000000005D94: D3CD0058 15629978
	v_exp_f32_e32 v64, v64                                     // 000000005D9C: 7E804140
	v_exp_f32_e32 v65, v65                                     // 000000005DA0: 7E824141
	v_mfma_f32_16x16x16_f16 v[88:91], v[122:123], a[78:79], v[88:91]// 000000005DA4: D3CD0058 15629D7A
	v_exp_f32_e32 v66, v66                                     // 000000005DAC: 7E844142
	v_exp_f32_e32 v67, v67                                     // 000000005DB0: 7E864143
	v_mfma_f32_16x16x16_f16 v[92:95], v[116:117], a[80:81], 0  // 000000005DB4: D3CD005C 1202A174
	v_exp_f32_e32 v68, v68                                     // 000000005DBC: 7E884144
	v_exp_f32_e32 v69, v69                                     // 000000005DC0: 7E8A4145
	v_mfma_f32_16x16x16_f16 v[92:95], v[118:119], a[82:83], v[92:95]// 000000005DC4: D3CD005C 1572A576
	v_exp_f32_e32 v70, v70                                     // 000000005DCC: 7E8C4146
	v_exp_f32_e32 v71, v71                                     // 000000005DD0: 7E8E4147
	v_mfma_f32_16x16x16_f16 v[92:95], v[120:121], a[84:85], v[92:95]// 000000005DD4: D3CD005C 1572A978
	v_exp_f32_e32 v72, v72                                     // 000000005DDC: 7E904148
	v_exp_f32_e32 v73, v73                                     // 000000005DE0: 7E924149
	v_mfma_f32_16x16x16_f16 v[92:95], v[122:123], a[86:87], v[92:95]// 000000005DE4: D3CD005C 1572AD7A
	v_exp_f32_e32 v74, v74                                     // 000000005DEC: 7E94414A
	v_exp_f32_e32 v75, v75                                     // 000000005DF0: 7E96414B
	v_mfma_f32_16x16x16_f16 v[96:99], v[116:117], a[88:89], 0  // 000000005DF4: D3CD0060 1202B174
	v_cvt_pkrtz_f16_f32 v164, v52, v53                         // 000000005DFC: D29600A4 00026B34
	v_cvt_pkrtz_f16_f32 v165, v54, v55                         // 000000005E04: D29600A5 00026F36
	v_cvt_pkrtz_f16_f32 v166, v56, v57                         // 000000005E0C: D29600A6 00027338
	v_cvt_pkrtz_f16_f32 v167, v58, v59                         // 000000005E14: D29600A7 0002773A
	v_cvt_pkrtz_f16_f32 v168, v60, v61                         // 000000005E1C: D29600A8 00027B3C
	v_cvt_pkrtz_f16_f32 v169, v62, v63                         // 000000005E24: D29600A9 00027F3E
	v_mfma_f32_16x16x16_f16 v[96:99], v[118:119], a[90:91], v[96:99]// 000000005E2C: D3CD0060 1582B576
	v_cvt_pkrtz_f16_f32 v170, v64, v65                         // 000000005E34: D29600AA 00028340
	v_cvt_pkrtz_f16_f32 v171, v66, v67                         // 000000005E3C: D29600AB 00028742
	v_cvt_pkrtz_f16_f32 v172, v68, v69                         // 000000005E44: D29600AC 00028B44
	v_cvt_pkrtz_f16_f32 v173, v70, v71                         // 000000005E4C: D29600AD 00028F46
	v_cvt_pkrtz_f16_f32 v174, v72, v73                         // 000000005E54: D29600AE 00029348
	v_cvt_pkrtz_f16_f32 v175, v74, v75                         // 000000005E5C: D29600AF 0002974A
	v_mfma_f32_16x16x16_f16 v[96:99], v[120:121], a[92:93], v[96:99]// 000000005E64: D3CD0060 1582B978
	v_add_u32_e32 v6, s66, v6                                  // 000000005E6C: 680C0C42
	v_add_u32_e32 v7, s66, v7                                  // 000000005E70: 680E0E42
	v_add_u32_e32 v8, s66, v8                                  // 000000005E74: 68101042
	v_add_u32_e32 v9, s66, v9                                  // 000000005E78: 68121242
	v_mfma_f32_16x16x16_f16 v[96:99], v[122:123], a[94:95], v[96:99]// 000000005E7C: D3CD0060 1582BD7A
	s_waitcnt lgkmcnt(0)                                       // 000000005E84: BF8CC07F
	s_barrier                                                  // 000000005E88: BF8A0000
	v_mfma_f32_16x16x16_f16 v[178:181], v[124:125], v[164:165], v[178:181]// 000000005E8C: D3CD00B2 06CB497C
	v_subrev_f32_dpp v76, v176, v76 quad_perm:[0,0,0,0] row_mask:0xf bank_mask:0xf// 000000005E94: 069898FA FF0000B0
	v_subrev_f32_dpp v77, v176, v77 quad_perm:[1,1,1,1] row_mask:0xf bank_mask:0xf// 000000005E9C: 069A9AFA FF0055B0
	v_subrev_f32_dpp v78, v176, v78 quad_perm:[2,2,2,2] row_mask:0xf bank_mask:0xf// 000000005EA4: 069C9CFA FF00AAB0
	v_subrev_f32_dpp v79, v176, v79 quad_perm:[3,3,3,3] row_mask:0xf bank_mask:0xf// 000000005EAC: 069E9EFA FF00FFB0
	v_subrev_f32_dpp v80, v176, v80 quad_perm:[0,0,0,0] row_mask:0xf bank_mask:0xf// 000000005EB4: 06A0A0FA FF0000B0
	v_subrev_f32_dpp v81, v176, v81 quad_perm:[1,1,1,1] row_mask:0xf bank_mask:0xf// 000000005EBC: 06A2A2FA FF0055B0
	v_mfma_f32_16x16x16_f16 v[182:185], v[126:127], v[164:165], v[182:185]// 000000005EC4: D3CD00B6 06DB497E
	v_subrev_f32_dpp v82, v176, v82 quad_perm:[2,2,2,2] row_mask:0xf bank_mask:0xf// 000000005ECC: 06A4A4FA FF00AAB0
	v_subrev_f32_dpp v83, v176, v83 quad_perm:[3,3,3,3] row_mask:0xf bank_mask:0xf// 000000005ED4: 06A6A6FA FF00FFB0
	v_subrev_f32_dpp v84, v176, v84 quad_perm:[0,0,0,0] row_mask:0xf bank_mask:0xf// 000000005EDC: 06A8A8FA FF0000B0
	v_subrev_f32_dpp v85, v176, v85 quad_perm:[1,1,1,1] row_mask:0xf bank_mask:0xf// 000000005EE4: 06AAAAFA FF0055B0
	v_subrev_f32_dpp v86, v176, v86 quad_perm:[2,2,2,2] row_mask:0xf bank_mask:0xf// 000000005EEC: 06ACACFA FF00AAB0
	v_subrev_f32_dpp v87, v176, v87 quad_perm:[3,3,3,3] row_mask:0xf bank_mask:0xf// 000000005EF4: 06AEAEFA FF00FFB0
	v_mfma_f32_16x16x16_f16 v[186:189], v[128:129], v[164:165], v[186:189]// 000000005EFC: D3CD00BA 06EB4980
	v_mul_f32_e32 v76, v52, v76                                // 000000005F04: 0A989934
	v_mul_f32_e32 v77, v53, v77                                // 000000005F08: 0A9A9B35
	v_mul_f32_e32 v78, v54, v78                                // 000000005F0C: 0A9C9D36
	v_mul_f32_e32 v79, v55, v79                                // 000000005F10: 0A9E9F37
	v_mul_f32_e32 v80, v56, v80                                // 000000005F14: 0AA0A138
	v_mul_f32_e32 v81, v57, v81                                // 000000005F18: 0AA2A339
	v_mfma_f32_16x16x16_f16 v[190:193], v[130:131], v[164:165], v[190:193]// 000000005F1C: D3CD00BE 06FB4982
	v_mul_f32_e32 v82, v58, v82                                // 000000005F24: 0AA4A53A
	v_mul_f32_e32 v83, v59, v83                                // 000000005F28: 0AA6A73B
	v_mul_f32_e32 v84, v60, v84                                // 000000005F2C: 0AA8A93C
	v_mul_f32_e32 v85, v61, v85                                // 000000005F30: 0AAAAB3D
	v_mul_f32_e32 v86, v62, v86                                // 000000005F34: 0AACAD3E
	v_mul_f32_e32 v87, v63, v87                                // 000000005F38: 0AAEAF3F
	v_mfma_f32_16x16x16_f16 v[194:197], v[124:125], v[166:167], v[194:197]// 000000005F3C: D3CD00C2 070B4D7C
	v_cvt_pkrtz_f16_f32 v76, v76, v77                          // 000000005F44: D296004C 00029B4C
	v_cvt_pkrtz_f16_f32 v77, v78, v79                          // 000000005F4C: D296004D 00029F4E
	v_cvt_pkrtz_f16_f32 v78, v80, v81                          // 000000005F54: D296004E 0002A350
	v_cvt_pkrtz_f16_f32 v79, v82, v83                          // 000000005F5C: D296004F 0002A752
	v_cvt_pkrtz_f16_f32 v80, v84, v85                          // 000000005F64: D2960050 0002AB54
	v_cvt_pkrtz_f16_f32 v81, v86, v87                          // 000000005F6C: D2960051 0002AF56
	v_mfma_f32_16x16x16_f16 v[198:201], v[126:127], v[166:167], v[198:201]// 000000005F74: D3CD00C6 071B4D7E
	v_mov_b32_dpp v18, v76 quad_perm:[1,0,3,2] row_mask:0xf bank_mask:0xf// 000000005F7C: 7E2402FA FF00B14C
	v_perm_b32 v52, v18, v76, v17                              // 000000005F84: D1ED0034 04469912
	v_mov_b32_dpp v18, v77 quad_perm:[1,0,3,2] row_mask:0xf bank_mask:0xf// 000000005F8C: 7E2402FA FF00B14D
	v_perm_b32 v53, v18, v77, v17                              // 000000005F94: D1ED0035 04469B12
	v_mov_b32_dpp v18, v78 quad_perm:[1,0,3,2] row_mask:0xf bank_mask:0xf// 000000005F9C: 7E2402FA FF00B14E
	v_perm_b32 v54, v18, v78, v17                              // 000000005FA4: D1ED0036 04469D12
	v_mfma_f32_16x16x16_f16 v[202:205], v[128:129], v[166:167], v[202:205]// 000000005FAC: D3CD00CA 072B4D80
	v_mov_b32_dpp v18, v79 quad_perm:[1,0,3,2] row_mask:0xf bank_mask:0xf// 000000005FB4: 7E2402FA FF00B14F
	v_perm_b32 v55, v18, v79, v17                              // 000000005FBC: D1ED0037 04469F12
	v_mov_b32_dpp v18, v80 quad_perm:[1,0,3,2] row_mask:0xf bank_mask:0xf// 000000005FC4: 7E2402FA FF00B150
	v_perm_b32 v56, v18, v80, v17                              // 000000005FCC: D1ED0038 0446A112
	v_mov_b32_dpp v18, v81 quad_perm:[1,0,3,2] row_mask:0xf bank_mask:0xf// 000000005FD4: 7E2402FA FF00B151
	v_perm_b32 v57, v18, v81, v17                              // 000000005FDC: D1ED0039 0446A312
	v_mfma_f32_16x16x16_f16 v[206:209], v[130:131], v[166:167], v[206:209]// 000000005FE4: D3CD00CE 073B4D82
	ds_write_b32 v20, v52 offset:17408                         // 000000005FEC: D81A4400 00003414
	ds_write_b32 v20, v53 offset:17952                         // 000000005FF4: D81A4620 00003514
	v_mfma_f32_16x16x16_f16 v[210:213], v[124:125], v[168:169], v[210:213]// 000000005FFC: D3CD00D2 074B517C
	v_subrev_f32_dpp v88, v177, v88 quad_perm:[0,0,0,0] row_mask:0xf bank_mask:0xf// 000000006004: 06B0B0FA FF0000B1
	v_subrev_f32_dpp v89, v177, v89 quad_perm:[1,1,1,1] row_mask:0xf bank_mask:0xf// 00000000600C: 06B2B2FA FF0055B1
	v_subrev_f32_dpp v90, v177, v90 quad_perm:[2,2,2,2] row_mask:0xf bank_mask:0xf// 000000006014: 06B4B4FA FF00AAB1
	v_subrev_f32_dpp v91, v177, v91 quad_perm:[3,3,3,3] row_mask:0xf bank_mask:0xf// 00000000601C: 06B6B6FA FF00FFB1
	v_subrev_f32_dpp v92, v177, v92 quad_perm:[0,0,0,0] row_mask:0xf bank_mask:0xf// 000000006024: 06B8B8FA FF0000B1
	v_subrev_f32_dpp v93, v177, v93 quad_perm:[1,1,1,1] row_mask:0xf bank_mask:0xf// 00000000602C: 06BABAFA FF0055B1
	v_mfma_f32_16x16x16_f16 v[214:217], v[126:127], v[168:169], v[214:217]// 000000006034: D3CD00D6 075B517E
	ds_write_b32 v20, v54 offset:19712                         // 00000000603C: D81A4D00 00003614
	ds_write_b32 v20, v55 offset:20256                         // 000000006044: D81A4F20 00003714
	v_mfma_f32_16x16x16_f16 v[218:221], v[128:129], v[168:169], v[218:221]// 00000000604C: D3CD00DA 076B5180
	v_subrev_f32_dpp v94, v177, v94 quad_perm:[2,2,2,2] row_mask:0xf bank_mask:0xf// 000000006054: 06BCBCFA FF00AAB1
	v_subrev_f32_dpp v95, v177, v95 quad_perm:[3,3,3,3] row_mask:0xf bank_mask:0xf// 00000000605C: 06BEBEFA FF00FFB1
	v_subrev_f32_dpp v96, v177, v96 quad_perm:[0,0,0,0] row_mask:0xf bank_mask:0xf// 000000006064: 06C0C0FA FF0000B1
	v_subrev_f32_dpp v97, v177, v97 quad_perm:[1,1,1,1] row_mask:0xf bank_mask:0xf// 00000000606C: 06C2C2FA FF0055B1
	v_subrev_f32_dpp v98, v177, v98 quad_perm:[2,2,2,2] row_mask:0xf bank_mask:0xf// 000000006074: 06C4C4FA FF00AAB1
	v_subrev_f32_dpp v99, v177, v99 quad_perm:[3,3,3,3] row_mask:0xf bank_mask:0xf// 00000000607C: 06C6C6FA FF00FFB1
	v_mfma_f32_16x16x16_f16 v[222:225], v[130:131], v[168:169], v[222:225]// 000000006084: D3CD00DE 077B5182
	ds_write_b32 v20, v56 offset:22016                         // 00000000608C: D81A5600 00003814
	ds_write_b32 v20, v57 offset:22560                         // 000000006094: D81A5820 00003914
	v_mfma_f32_16x16x16_f16 v[178:181], v[132:133], v[170:171], v[178:181]// 00000000609C: D3CD00B2 06CB5584
	v_mul_f32_e32 v88, v64, v88                                // 0000000060A4: 0AB0B140
	v_mul_f32_e32 v89, v65, v89                                // 0000000060A8: 0AB2B341
	v_mul_f32_e32 v90, v66, v90                                // 0000000060AC: 0AB4B542
	v_mul_f32_e32 v91, v67, v91                                // 0000000060B0: 0AB6B743
	v_mul_f32_e32 v92, v68, v92                                // 0000000060B4: 0AB8B944
	v_mul_f32_e32 v93, v69, v93                                // 0000000060B8: 0ABABB45
	v_mfma_f32_16x16x16_f16 v[182:185], v[134:135], v[170:171], v[182:185]// 0000000060BC: D3CD00B6 06DB5586
	v_mul_f32_e32 v94, v70, v94                                // 0000000060C4: 0ABCBD46
	v_mul_f32_e32 v95, v71, v95                                // 0000000060C8: 0ABEBF47
	v_mul_f32_e32 v96, v72, v96                                // 0000000060CC: 0AC0C148
	v_mul_f32_e32 v97, v73, v97                                // 0000000060D0: 0AC2C349
	v_mul_f32_e32 v98, v74, v98                                // 0000000060D4: 0AC4C54A
	v_mul_f32_e32 v99, v75, v99                                // 0000000060D8: 0AC6C74B
	v_mfma_f32_16x16x16_f16 v[186:189], v[136:137], v[170:171], v[186:189]// 0000000060DC: D3CD00BA 06EB5588
	v_cvt_pkrtz_f16_f32 v82, v88, v89                          // 0000000060E4: D2960052 0002B358
	v_cvt_pkrtz_f16_f32 v83, v90, v91                          // 0000000060EC: D2960053 0002B75A
	v_cvt_pkrtz_f16_f32 v84, v92, v93                          // 0000000060F4: D2960054 0002BB5C
	v_cvt_pkrtz_f16_f32 v85, v94, v95                          // 0000000060FC: D2960055 0002BF5E
	v_cvt_pkrtz_f16_f32 v86, v96, v97                          // 000000006104: D2960056 0002C360
	v_cvt_pkrtz_f16_f32 v87, v98, v99                          // 00000000610C: D2960057 0002C762
	v_mfma_f32_16x16x16_f16 v[190:193], v[138:139], v[170:171], v[190:193]// 000000006114: D3CD00BE 06FB558A
	v_mov_b32_dpp v18, v82 quad_perm:[1,0,3,2] row_mask:0xf bank_mask:0xf// 00000000611C: 7E2402FA FF00B152
	v_perm_b32 v58, v18, v82, v17                              // 000000006124: D1ED003A 0446A512
	v_mov_b32_dpp v18, v83 quad_perm:[1,0,3,2] row_mask:0xf bank_mask:0xf// 00000000612C: 7E2402FA FF00B153
	v_perm_b32 v59, v18, v83, v17                              // 000000006134: D1ED003B 0446A712
	v_mov_b32_dpp v18, v84 quad_perm:[1,0,3,2] row_mask:0xf bank_mask:0xf// 00000000613C: 7E2402FA FF00B154
	v_perm_b32 v60, v18, v84, v17                              // 000000006144: D1ED003C 0446A912
	v_mfma_f32_16x16x16_f16 v[194:197], v[132:133], v[172:173], v[194:197]// 00000000614C: D3CD00C2 070B5984
	v_mov_b32_dpp v18, v85 quad_perm:[1,0,3,2] row_mask:0xf bank_mask:0xf// 000000006154: 7E2402FA FF00B155
	v_perm_b32 v61, v18, v85, v17                              // 00000000615C: D1ED003D 0446AB12
	v_mov_b32_dpp v18, v86 quad_perm:[1,0,3,2] row_mask:0xf bank_mask:0xf// 000000006164: 7E2402FA FF00B156
	v_perm_b32 v62, v18, v86, v17                              // 00000000616C: D1ED003E 0446AD12
	v_mov_b32_dpp v18, v87 quad_perm:[1,0,3,2] row_mask:0xf bank_mask:0xf// 000000006174: 7E2402FA FF00B157
	v_perm_b32 v63, v18, v87, v17                              // 00000000617C: D1ED003F 0446AF12
	v_mfma_f32_16x16x16_f16 v[198:201], v[134:135], v[172:173], v[198:201]// 000000006184: D3CD00C6 071B5986
	ds_write_b32 v20, v58 offset:24320                         // 00000000618C: D81A5F00 00003A14
	ds_write_b32 v20, v59 offset:24864                         // 000000006194: D81A6120 00003B14
	v_mfma_f32_16x16x16_f16 v[202:205], v[136:137], v[172:173], v[202:205]// 00000000619C: D3CD00CA 072B5988
	v_mfma_f32_16x16x16_f16 v[206:209], v[138:139], v[172:173], v[206:209]// 0000000061A4: D3CD00CE 073B598A
	ds_write_b32 v20, v60 offset:26624                         // 0000000061AC: D81A6800 00003C14
	ds_write_b32 v20, v61 offset:27168                         // 0000000061B4: D81A6A20 00003D14
	ds_write_b32 v20, v62 offset:28928                         // 0000000061BC: D81A7100 00003E14
	ds_write_b32 v20, v63 offset:29472                         // 0000000061C4: D81A7320 00003F14
	v_mfma_f32_16x16x16_f16 v[210:213], v[132:133], v[174:175], v[210:213]// 0000000061CC: D3CD00D2 074B5D84
	v_mfma_f32_16x16x16_f16 v[214:217], v[134:135], v[174:175], v[214:217]// 0000000061D4: D3CD00D6 075B5D86
	ds_write_b32 v15, v100 offset:4352                         // 0000000061DC: D81A1100 0000640F
	ds_write_b32 v15, v101 offset:5408                         // 0000000061E4: D81A1520 0000650F
	v_mfma_f32_16x16x16_f16 v[218:221], v[136:137], v[174:175], v[218:221]// 0000000061EC: D3CD00DA 076B5D88
	s_nop 0                                                    // 0000000061F4: BF800000
	s_nop 0                                                    // 0000000061F8: BF800000
	s_nop 0                                                    // 0000000061FC: BF800000
	v_mfma_f32_16x16x16_f16 v[222:225], v[138:139], v[174:175], v[222:225]// 000000006200: D3CD00DE 077B5D8A
	ds_write_b32 v15, v102 offset:6528                         // 000000006208: D81A1980 0000660F
	ds_write_b32 v15, v103 offset:7584                         // 000000006210: D81A1DA0 0000670F
	s_barrier                                                  // 000000006218: BF8A0000
	v_mfma_f32_16x16x16_f16 a[112:115], a[96:97], v[76:77], a[112:115]// 00000000621C: D3CD8070 0DC29960
	buffer_atomic_add_f32 v156, v6, s[32:35], 0 idxen          // 000000006224: E1342000 80089C06
	v_mfma_f32_16x16x16_f16 a[116:119], a[98:99], v[76:77], a[116:119]// 00000000622C: D3CD8074 0DD29962
	ds_read_b32 v140, v23 offset:39936                         // 000000006234: D86C9C00 8C000017
	ds_read_b32 v144, v23 offset:40000                         // 00000000623C: D86C9C40 90000017
	ds_read_b32 v176, v23 offset:40192                         // 000000006244: D86C9D00 B0000017
	ds_read_b32 v177, v23 offset:40256                         // 00000000624C: D86C9D40 B1000017
	v_mfma_f32_16x16x16_f16 a[120:123], a[100:101], v[76:77], a[120:123]// 000000006254: D3CD8078 0DE29964
	s_waitcnt lgkmcnt(8)                                       // 00000000625C: BF8CC87F
	s_barrier                                                  // 000000006260: BF8A0000
	v_mfma_f32_16x16x16_f16 a[124:127], a[102:103], v[76:77], a[124:127]// 000000006264: D3CD807C 0DF29966
	ds_read_b128 v[52:55], v19 offset:17408                    // 00000000626C: D9FE4400 34000013
	v_mfma_f32_16x16x16_f16 a[128:131], a[96:97], v[78:79], a[128:131]// 000000006274: D3CD8080 0E029D60
	v_mfma_f32_16x16x16_f16 a[132:135], a[98:99], v[78:79], a[132:135]// 00000000627C: D3CD8084 0E129D62
	ds_read_b128 v[56:59], v19 offset:18560                    // 000000006284: D9FE4880 38000013
	v_mfma_f32_16x16x16_f16 a[136:139], a[100:101], v[78:79], a[136:139]// 00000000628C: D3CD8088 0E229D64
	buffer_atomic_add_f32 v157, v7, s[32:35], 0 idxen          // 000000006294: E1342000 80089D07
	v_mfma_f32_16x16x16_f16 a[140:143], a[102:103], v[78:79], a[140:143]// 00000000629C: D3CD808C 0E329D66
	ds_read_b128 v[60:63], v19 offset:19712                    // 0000000062A4: D9FE4D00 3C000013
	v_mfma_f32_16x16x16_f16 a[144:147], a[96:97], v[80:81], a[144:147]// 0000000062AC: D3CD8090 0E42A160
	v_mfma_f32_16x16x16_f16 a[148:151], a[98:99], v[80:81], a[148:151]// 0000000062B4: D3CD8094 0E52A162
	ds_read_b128 v[64:67], v19 offset:20864                    // 0000000062BC: D9FE5180 40000013
	v_mfma_f32_16x16x16_f16 a[152:155], a[100:101], v[80:81], a[152:155]// 0000000062C4: D3CD8098 0E62A164
	v_mfma_f32_16x16x16_f16 a[156:159], a[102:103], v[80:81], a[156:159]// 0000000062CC: D3CD809C 0E72A166
	ds_read_b128 v[68:71], v19 offset:22016                    // 0000000062D4: D9FE5600 44000013
	v_mfma_f32_16x16x16_f16 a[112:115], a[104:105], v[82:83], a[112:115]// 0000000062DC: D3CD8070 0DC2A568
	buffer_atomic_add_f32 v158, v6, s[32:35], 0 idxen offset:128// 0000000062E4: E1342080 80089E06
	v_mfma_f32_16x16x16_f16 a[116:119], a[106:107], v[82:83], a[116:119]// 0000000062EC: D3CD8074 0DD2A56A
	ds_read_b128 v[72:75], v19 offset:23168                    // 0000000062F4: D9FE5A80 48000013
	v_mfma_f32_16x16x16_f16 a[120:123], a[108:109], v[82:83], a[120:123]// 0000000062FC: D3CD8078 0DE2A56C
	v_mfma_f32_16x16x16_f16 a[124:127], a[110:111], v[82:83], a[124:127]// 000000006304: D3CD807C 0DF2A56E
	ds_write_b32 v15, v104 offset:13056                        // 00000000630C: D81A3300 0000680F
	v_mfma_f32_16x16x16_f16 a[128:131], a[104:105], v[84:85], a[128:131]// 000000006314: D3CD8080 0E02A968
	v_mfma_f32_16x16x16_f16 a[132:135], a[106:107], v[84:85], a[132:135]// 00000000631C: D3CD8084 0E12A96A
	ds_write_b32 v15, v105 offset:14112                        // 000000006324: D81A3720 0000690F
	v_mfma_f32_16x16x16_f16 a[136:139], a[108:109], v[84:85], a[136:139]// 00000000632C: D3CD8088 0E22A96C
	buffer_atomic_add_f32 v159, v7, s[32:35], 0 idxen offset:128// 000000006334: E1342080 80089F07
	v_mfma_f32_16x16x16_f16 a[140:143], a[110:111], v[84:85], a[140:143]// 00000000633C: D3CD808C 0E32A96E
	ds_write_b32 v15, v106 offset:15232                        // 000000006344: D81A3B80 00006A0F
	v_mfma_f32_16x16x16_f16 a[144:147], a[104:105], v[86:87], a[144:147]// 00000000634C: D3CD8090 0E42AD68
	v_mfma_f32_16x16x16_f16 a[148:151], a[106:107], v[86:87], a[148:151]// 000000006354: D3CD8094 0E52AD6A
	ds_write_b32 v15, v107 offset:16288                        // 00000000635C: D81A3FA0 00006B0F
	v_mfma_f32_16x16x16_f16 a[152:155], a[108:109], v[86:87], a[152:155]// 000000006364: D3CD8098 0E62AD6C
	v_mfma_f32_16x16x16_f16 a[156:159], a[110:111], v[86:87], a[156:159]// 00000000636C: D3CD809C 0E72AD6E
	s_waitcnt vmcnt(8) lgkmcnt(4)                              // 000000006374: BF8C0478
	s_barrier                                                  // 000000006378: BF8A0000
	v_mfma_f32_16x16x16_f16 v[148:151], v[52:53], a[24:25], 0  // 00000000637C: D3CD0094 12023134
	v_mul_f32_e32 v140, s48, v140                              // 000000006384: 0B191830
	v_mul_f32_e32 v144, s48, v144                              // 000000006388: 0B212030
	s_nop 0                                                    // 00000000638C: BF800000
	v_mfma_f32_16x16x16_f16 v[148:151], v[54:55], a[28:29], v[148:151]// 000000006390: D3CD0094 16523936
	ds_read_b128 a[96:99], v12                                 // 000000006398: DBFE0000 6000000C
	buffer_load_dword v40, v1, s[8:11], 0 idxen                // 0000000063A0: E0502000 80022801
	v_mfma_f32_16x16x16_f16 v[148:151], v[56:57], a[32:33], v[148:151]// 0000000063A8: D3CD0094 16524138
	v_mfma_f32_16x16x16_f16 v[148:151], v[58:59], a[36:37], v[148:151]// 0000000063B0: D3CD0094 1652493A
	ds_read_b128 a[100:103], v12 offset:512                    // 0000000063B8: DBFE0200 6400000C
	buffer_load_dword v41, v2, s[8:11], 0 idxen                // 0000000063C0: E0502000 80022902
	v_mfma_f32_16x16x16_f16 v[148:151], v[60:61], a[40:41], v[148:151]// 0000000063C8: D3CD0094 1652513C
	v_perm_b32 v100, v37, v36, s63                             // 0000000063D0: D1ED0064 00FE4925
	v_perm_b32 v101, v37, v36, s64                             // 0000000063D8: D1ED0065 01024925
	v_mfma_f32_16x16x16_f16 v[148:151], v[62:63], a[44:45], v[148:151]// 0000000063E0: D3CD0094 1652593E
	ds_read_b128 a[104:107], v12 offset:2176                   // 0000000063E8: DBFE0880 6800000C
	buffer_load_dword v42, v3, s[8:11], 0 idxen                // 0000000063F0: E0502000 80022A03
	v_mfma_f32_16x16x16_f16 v[148:151], v[64:65], a[48:49], v[148:151]// 0000000063F8: D3CD0094 16526140
	v_perm_b32 v102, v39, v38, s63                             // 000000006400: D1ED0066 00FE4D27
	v_perm_b32 v103, v39, v38, s64                             // 000000006408: D1ED0067 01024D27
	v_mfma_f32_16x16x16_f16 v[148:151], v[66:67], a[52:53], v[148:151]// 000000006410: D3CD0094 16526942
	ds_read_b128 a[108:111], v12 offset:2688                   // 000000006418: DBFE0A80 6C00000C
	buffer_load_dword v43, v4, s[8:11], 0 idxen                // 000000006420: E0502000 80022B04
	v_mfma_f32_16x16x16_f16 v[148:151], v[68:69], a[56:57], v[148:151]// 000000006428: D3CD0094 16527144
	v_perm_b32 v104, v45, v44, s63                             // 000000006430: D1ED0068 00FE592D
	v_perm_b32 v105, v45, v44, s64                             // 000000006438: D1ED0069 0102592D
	v_mfma_f32_16x16x16_f16 v[148:151], v[70:71], a[60:61], v[148:151]// 000000006440: D3CD0094 16527946
	ds_read_b128 v[108:111], v12 offset:8704                   // 000000006448: D9FE2200 6C00000C
	buffer_load_dword v48, v227, s[20:23], 0 idxen             // 000000006450: E0502000 800530E3
	v_mfma_f32_16x16x16_f16 v[148:151], v[72:73], a[64:65], v[148:151]// 000000006458: D3CD0094 16528148
	v_perm_b32 v106, v47, v46, s63                             // 000000006460: D1ED006A 00FE5D2F
	v_perm_b32 v107, v47, v46, s64                             // 000000006468: D1ED006B 01025D2F
	v_mfma_f32_16x16x16_f16 v[148:151], v[74:75], a[68:69], v[148:151]// 000000006470: D3CD0094 1652894A
	ds_read_b128 v[112:115], v12 offset:9216                   // 000000006478: D9FE2400 7000000C
	buffer_load_dword v49, v228, s[20:23], 0 idxen             // 000000006480: E0502000 800531E4
	v_mfma_f32_16x16x16_f16 v[152:155], v[52:53], a[26:27], 0  // 000000006488: D3CD0098 12023534
	v_mov_b32_dpp v143, v140 quad_perm:[3,3,3,3] row_mask:0xf bank_mask:0xf// 000000006490: 7F1E02FA FF00FF8C
	v_mov_b32_dpp v142, v140 quad_perm:[2,2,2,2] row_mask:0xf bank_mask:0xf// 000000006498: 7F1C02FA FF00AA8C
	v_mov_b32_dpp v141, v140 quad_perm:[1,1,1,1] row_mask:0xf bank_mask:0xf// 0000000064A0: 7F1A02FA FF00558C
	v_mov_b32_dpp v140, v140 quad_perm:[0,0,0,0] row_mask:0xf bank_mask:0xf// 0000000064A8: 7F1802FA FF00008C
	v_mfma_f32_16x16x16_f16 v[152:155], v[54:55], a[30:31], v[152:155]// 0000000064B0: D3CD0098 16623D36
	ds_read_b128 v[116:119], v12 offset:10880                  // 0000000064B8: D9FE2A80 7400000C
	buffer_load_dword v50, v229, s[20:23], 0 idxen             // 0000000064C0: E0502000 800532E5
	v_mfma_f32_16x16x16_f16 v[152:155], v[56:57], a[34:35], v[152:155]// 0000000064C8: D3CD0098 16624538
	v_mov_b32_dpp v147, v144 quad_perm:[3,3,3,3] row_mask:0xf bank_mask:0xf// 0000000064D0: 7F2602FA FF00FF90
	v_mov_b32_dpp v146, v144 quad_perm:[2,2,2,2] row_mask:0xf bank_mask:0xf// 0000000064D8: 7F2402FA FF00AA90
	v_mov_b32_dpp v145, v144 quad_perm:[1,1,1,1] row_mask:0xf bank_mask:0xf// 0000000064E0: 7F2202FA FF005590
	v_mov_b32_dpp v144, v144 quad_perm:[0,0,0,0] row_mask:0xf bank_mask:0xf// 0000000064E8: 7F2002FA FF000090
	s_add_u32 s60, 0x80, s59                                   // 0000000064F0: 803C3BFF 00000080
	v_mfma_f32_16x16x16_f16 v[152:155], v[58:59], a[38:39], v[152:155]// 0000000064F8: D3CD0098 16624D3A
	ds_read_b128 v[120:123], v12 offset:11392                  // 000000006500: D9FE2C80 7800000C
	buffer_load_dword v51, v230, s[20:23], 0 idxen             // 000000006508: E0502000 800533E6
	v_mfma_f32_16x16x16_f16 v[152:155], v[60:61], a[42:43], v[152:155]// 000000006510: D3CD0098 1662553C
	s_cmp_lt_u32 s60, s58                                      // 000000006518: BF0A3A3C
	s_cselect_b32 s68, s68, 0                                  // 00000000651C: 85448044
	s_cselect_b32 s81, s81, 0                                  // 000000006520: 85518051
	s_cselect_b32 s69, s69, 0                                  // 000000006524: 85458045
	v_mfma_f32_16x16x16_f16 v[152:155], v[62:63], a[46:47], v[152:155]// 000000006528: D3CD0098 16625D3E
	buffer_load_dword v11, s[24:27], 0 idxen lds               // 000000006530: E0512000 8006000B
	v_mfma_f32_16x16x16_f16 v[152:155], v[64:65], a[50:51], v[152:155]// 000000006538: D3CD0098 16626540
	v_add_u32_e32 v1, s68, v1                                  // 000000006540: 68020244
	v_add_u32_e32 v2, s68, v2                                  // 000000006544: 68040444
	;; [unrolled: 1-line block ×3, first 2 shown]
	v_add_u32_e32 v4, s68, v4                                  // 00000000654C: 68080844
	v_mfma_f32_16x16x16_f16 v[152:155], v[66:67], a[54:55], v[152:155]// 000000006550: D3CD0098 16626D42
	v_add_u32_e32 v227, s81, v227                              // 000000006558: 69C7C651
	v_add_u32_e32 v228, s81, v228                              // 00000000655C: 69C9C851
	v_add_u32_e32 v229, s81, v229                              // 000000006560: 69CBCA51
	v_add_u32_e32 v230, s81, v230                              // 000000006564: 69CDCC51
	v_mfma_f32_16x16x16_f16 v[152:155], v[68:69], a[58:59], v[152:155]// 000000006568: D3CD0098 16627544
	s_mov_b32 m0, s74                                          // 000000006570: BEFC004A
	v_add_u32_e32 v11, s69, v11                                // 000000006574: 68161645
	v_mfma_f32_16x16x16_f16 v[152:155], v[70:71], a[62:63], v[152:155]// 000000006578: D3CD0098 16627D46
	s_cmp_ge_u32 s59, 32                                       // 000000006580: BF09A03B
	s_cselect_b32 s66, s67, s66                                // 000000006584: 85424243
	v_mfma_f32_16x16x16_f16 v[152:155], v[72:73], a[66:67], v[152:155]// 000000006588: D3CD0098 16628548
	s_addk_i32 s59, 0x20                                       // 000000006590: B73B0020
	s_nop 0                                                    // 000000006594: BF800000
	s_cmp_lt_i32 s59, s58                                      // 000000006598: BF043A3B
	v_mfma_f32_16x16x16_f16 v[152:155], v[74:75], a[70:71], v[152:155]// 00000000659C: D3CD0098 16628D4A
	s_cbranch_scc0 label_0CBE                                  // 0000000065A4: BF840342
	s_waitcnt lgkmcnt(4)                                       // 0000000065A8: BF8CC47F
	s_barrier                                                  // 0000000065AC: BF8A0000
	v_mfma_f32_16x16x16_f16 v[52:55], a[96:97], a[0:1], 0      // 0000000065B0: D3CD0034 1A020160
	ds_write_b32 v13, v44 offset:8704                          // 0000000065B8: D81A2200 00002C0D
	ds_write_b32 v13, v45 offset:9760                          // 0000000065C0: D81A2620 00002D0D
	v_mfma_f32_16x16x16_f16 v[52:55], a[98:99], a[2:3], v[52:55]// 0000000065C8: D3CD0034 1CD20562
	v_mul_f32_e32 v148, s47, v148                              // 0000000065D0: 0B29282F
	v_mul_f32_e32 v149, s47, v149                              // 0000000065D4: 0B2B2A2F
	v_mfma_f32_16x16x16_f16 v[52:55], a[100:101], a[4:5], v[52:55]// 0000000065D8: D3CD0034 1CD20964
	ds_write_b32 v13, v46 offset:10880                         // 0000000065E0: D81A2A80 00002E0D
	ds_write_b32 v13, v47 offset:11936                         // 0000000065E8: D81A2EA0 00002F0D
	v_mfma_f32_16x16x16_f16 v[52:55], a[102:103], a[6:7], v[52:55]// 0000000065F0: D3CD0034 1CD20D66
	v_mul_f32_e32 v150, s47, v150                              // 0000000065F8: 0B2D2C2F
	v_mul_f32_e32 v151, s47, v151                              // 0000000065FC: 0B2F2E2F
	v_mfma_f32_16x16x16_f16 v[56:59], a[96:97], a[8:9], 0      // 000000006600: D3CD0038 1A021160
	ds_write_b64 v22, v[148:149] offset:31232                  // 000000006608: D89A7A00 00009416
	v_mfma_f32_16x16x16_f16 v[56:59], a[98:99], a[10:11], v[56:59]// 000000006610: D3CD0038 1CE21562
	v_mul_f32_e32 v152, s47, v152                              // 000000006618: 0B31302F
	v_mul_f32_e32 v153, s47, v153                              // 00000000661C: 0B33322F
	v_mfma_f32_16x16x16_f16 v[56:59], a[100:101], a[12:13], v[56:59]// 000000006620: D3CD0038 1CE21964
	ds_write_b64 v22, v[150:151] offset:31744                  // 000000006628: D89A7C00 00009616
	v_mfma_f32_16x16x16_f16 v[56:59], a[102:103], a[14:15], v[56:59]// 000000006630: D3CD0038 1CE21D66
	v_mul_f32_e32 v154, s47, v154                              // 000000006638: 0B35342F
	v_mul_f32_e32 v155, s47, v155                              // 00000000663C: 0B37362F
	v_mfma_f32_16x16x16_f16 v[60:63], a[96:97], a[16:17], 0    // 000000006640: D3CD003C 1A022160
	ds_write_b64 v22, v[152:153] offset:32256                  // 000000006648: D89A7E00 00009816
	v_mfma_f32_16x16x16_f16 v[60:63], a[98:99], a[18:19], v[60:63]// 000000006650: D3CD003C 1CF22562
	buffer_atomic_add_f32 v160, v8, s[32:35], 0 idxen          // 000000006658: E1342000 8008A008
	v_mfma_f32_16x16x16_f16 v[60:63], a[100:101], a[20:21], v[60:63]// 000000006660: D3CD003C 1CF22964
	ds_write_b64 v22, v[154:155] offset:32768                  // 000000006668: D89A8000 00009A16
	v_mfma_f32_16x16x16_f16 v[60:63], a[102:103], a[22:23], v[60:63]// 000000006670: D3CD003C 1CF22D66
	v_mfma_f32_16x16x16_f16 v[64:67], a[104:105], a[0:1], 0    // 000000006678: D3CD0040 1A020168
	ds_read_b128 v[124:127], v14 offset:13056                  // 000000006680: D9FE3300 7C00000E
	ds_write_b32 v13, v36                                      // 000000006688: D81A0000 0000240D
	v_mfma_f32_16x16x16_f16 v[64:67], a[106:107], a[2:3], v[64:67]// 000000006690: D3CD0040 1D02056A
	buffer_atomic_add_f32 v161, v9, s[32:35], 0 idxen          // 000000006698: E1342000 8008A109
	v_mfma_f32_16x16x16_f16 v[64:67], a[108:109], a[4:5], v[64:67]// 0000000066A0: D3CD0040 1D02096C
	v_mfma_f32_16x16x16_f16 v[64:67], a[110:111], a[6:7], v[64:67]// 0000000066A8: D3CD0040 1D020D6E
	ds_read_b128 v[128:131], v14 offset:13568                  // 0000000066B0: D9FE3500 8000000E
	ds_write_b32 v13, v37 offset:1056                          // 0000000066B8: D81A0420 0000250D
	v_mfma_f32_16x16x16_f16 v[68:71], a[104:105], a[8:9], 0    // 0000000066C0: D3CD0044 1A021168
	buffer_atomic_add_f32 v162, v8, s[32:35], 0 idxen offset:128// 0000000066C8: E1342080 8008A208
	v_mfma_f32_16x16x16_f16 v[68:71], a[106:107], a[10:11], v[68:71]// 0000000066D0: D3CD0044 1D12156A
	v_mfma_f32_16x16x16_f16 v[68:71], a[108:109], a[12:13], v[68:71]// 0000000066D8: D3CD0044 1D12196C
	ds_read_b128 v[132:135], v14 offset:15232                  // 0000000066E0: D9FE3B80 8400000E
	ds_write_b32 v13, v38 offset:2176                          // 0000000066E8: D81A0880 0000260D
	v_mfma_f32_16x16x16_f16 v[68:71], a[110:111], a[14:15], v[68:71]// 0000000066F0: D3CD0044 1D121D6E
	v_mfma_f32_16x16x16_f16 v[72:75], a[104:105], a[16:17], 0  // 0000000066F8: D3CD0048 1A022168
	buffer_atomic_add_f32 v163, v9, s[32:35], 0 idxen offset:128// 000000006700: E1342080 8008A309
	v_mfma_f32_16x16x16_f16 v[72:75], a[106:107], a[18:19], v[72:75]// 000000006708: D3CD0048 1D22256A
	ds_read_b128 v[136:139], v14 offset:15744                  // 000000006710: D9FE3D80 8800000E
	ds_write_b32 v13, v39 offset:3232                          // 000000006718: D81A0CA0 0000270D
	v_mfma_f32_16x16x16_f16 v[72:75], a[108:109], a[20:21], v[72:75]// 000000006720: D3CD0048 1D22296C
	v_mfma_f32_16x16x16_f16 v[72:75], a[110:111], a[22:23], v[72:75]// 000000006728: D3CD0048 1D222D6E
	s_cmp_lt_i32 s83, 0xc0                                     // 000000006730: BF04FF53 000000C0
	s_cbranch_scc0 label_0A4E                                  // 000000006738: BF84006D
	s_cmp_le_i32 s83, 64                                       // 00000000673C: BF05C053
	s_cbranch_scc1 label_09E1                                  // 000000006740: BF850007
	s_cmp_le_i32 s83, 0x80                                     // 000000006744: BF05FF53 00000080
	s_cbranch_scc1 label_0A05                                  // 00000000674C: BF85001F
	s_cmp_lt_i32 s83, 0xc0                                     // 000000006750: BF04FF53 000000C0
	s_cbranch_scc1 label_0A29                                  // 000000006758: BF850040
	s_branch label_0A4E                                        // 00000000675C: BF820064

0000000000006760 <label_09E1>:
	s_mov_b32 s60, 0                                           // 000000006760: BEBC0080
	v_and_b32_e32 v32, 15, v0                                  // 000000006764: 2640008F
	v_add_u32_e64 v32, v32, s60                                // 000000006768: D1340020 00007920
	v_mul_i32_i24_e64 v33, s46, 16                             // 000000006770: D1060021 0001202E
	v_add_u32_e32 v32, v32, v33                                // 000000006778: 68404320
	v_cmp_lt_u32_e64 s[60:61], v32, s83                        // 00000000677C: D0C9003C 0000A720
	s_nop 1                                                    // 000000006784: BF800001
	v_cndmask_b32_e64 v52, v226, v52, s[60:61]                 // 000000006788: D1000034 00F269E2
	v_cndmask_b32_e64 v64, v226, v64, s[60:61]                 // 000000006790: D1000040 00F281E2
	v_cndmask_b32_e64 v53, v226, v53, s[60:61]                 // 000000006798: D1000035 00F26BE2
	v_cndmask_b32_e64 v65, v226, v65, s[60:61]                 // 0000000067A0: D1000041 00F283E2
	v_cndmask_b32_e64 v54, v226, v54, s[60:61]                 // 0000000067A8: D1000036 00F26DE2
	v_cndmask_b32_e64 v66, v226, v66, s[60:61]                 // 0000000067B0: D1000042 00F285E2
	v_cndmask_b32_e64 v55, v226, v55, s[60:61]                 // 0000000067B8: D1000037 00F26FE2
	v_cndmask_b32_e64 v67, v226, v67, s[60:61]                 // 0000000067C0: D1000043 00F287E2
	s_branch label_0A20                                        // 0000000067C8: BF82001B

00000000000067cc <label_0A05>:
	s_mov_b32 s60, 64                                          // 0000000067CC: BEBC00C0
	v_and_b32_e32 v32, 15, v0                                  // 0000000067D0: 2640008F
	v_add_u32_e64 v32, v32, s60                                // 0000000067D4: D1340020 00007920
	v_mul_i32_i24_e64 v33, s46, 16                             // 0000000067DC: D1060021 0001202E
	v_add_u32_e32 v32, v32, v33                                // 0000000067E4: 68404320
	v_cmp_lt_u32_e64 s[60:61], v32, s83                        // 0000000067E8: D0C9003C 0000A720
	s_nop 1                                                    // 0000000067F0: BF800001
	v_cndmask_b32_e64 v56, v226, v56, s[60:61]                 // 0000000067F4: D1000038 00F271E2
	v_cndmask_b32_e64 v68, v226, v68, s[60:61]                 // 0000000067FC: D1000044 00F289E2
	v_cndmask_b32_e64 v57, v226, v57, s[60:61]                 // 000000006804: D1000039 00F273E2
	v_cndmask_b32_e64 v69, v226, v69, s[60:61]                 // 00000000680C: D1000045 00F28BE2
	v_cndmask_b32_e64 v58, v226, v58, s[60:61]                 // 000000006814: D100003A 00F275E2
	v_cndmask_b32_e64 v70, v226, v70, s[60:61]                 // 00000000681C: D1000046 00F28DE2
	v_cndmask_b32_e64 v59, v226, v59, s[60:61]                 // 000000006824: D100003B 00F277E2
	v_cndmask_b32_e64 v71, v226, v71, s[60:61]                 // 00000000682C: D1000047 00F28FE2
	s_branch label_0A45                                        // 000000006834: BF820025

0000000000006838 <label_0A20>:
	v_mov_b32_e32 v56, v226                                    // 000000006838: 7E7003E2
	v_mov_b32_e32 v68, v226                                    // 00000000683C: 7E8803E2
	v_mov_b32_e32 v57, v226                                    // 000000006840: 7E7203E2
	v_mov_b32_e32 v69, v226                                    // 000000006844: 7E8A03E2
	v_mov_b32_e32 v58, v226                                    // 000000006848: 7E7403E2
	v_mov_b32_e32 v70, v226                                    // 00000000684C: 7E8C03E2
	v_mov_b32_e32 v59, v226                                    // 000000006850: 7E7603E2
	v_mov_b32_e32 v71, v226                                    // 000000006854: 7E8E03E2
	s_branch label_0A45                                        // 000000006858: BF82001C

000000000000685c <label_0A29>:
	s_mov_b32 s60, 0x80                                        // 00000000685C: BEBC00FF 00000080
	v_and_b32_e32 v32, 15, v0                                  // 000000006864: 2640008F
	v_add_u32_e64 v32, v32, s60                                // 000000006868: D1340020 00007920
	v_mul_i32_i24_e64 v33, s46, 16                             // 000000006870: D1060021 0001202E
	v_add_u32_e32 v32, v32, v33                                // 000000006878: 68404320
	v_cmp_lt_u32_e64 s[60:61], v32, s83                        // 00000000687C: D0C9003C 0000A720
	s_nop 1                                                    // 000000006884: BF800001
	v_cndmask_b32_e64 v60, v226, v60, s[60:61]                 // 000000006888: D100003C 00F279E2
	v_cndmask_b32_e64 v72, v226, v72, s[60:61]                 // 000000006890: D1000048 00F291E2
	v_cndmask_b32_e64 v61, v226, v61, s[60:61]                 // 000000006898: D100003D 00F27BE2
	v_cndmask_b32_e64 v73, v226, v73, s[60:61]                 // 0000000068A0: D1000049 00F293E2
	v_cndmask_b32_e64 v62, v226, v62, s[60:61]                 // 0000000068A8: D100003E 00F27DE2
	v_cndmask_b32_e64 v74, v226, v74, s[60:61]                 // 0000000068B0: D100004A 00F295E2
	v_cndmask_b32_e64 v63, v226, v63, s[60:61]                 // 0000000068B8: D100003F 00F27FE2
	v_cndmask_b32_e64 v75, v226, v75, s[60:61]                 // 0000000068C0: D100004B 00F297E2
	s_branch label_0A4E                                        // 0000000068C8: BF820009

00000000000068cc <label_0A45>:
	v_mov_b32_e32 v60, v226                                    // 0000000068CC: 7E7803E2
	v_mov_b32_e32 v72, v226                                    // 0000000068D0: 7E9003E2
	v_mov_b32_e32 v61, v226                                    // 0000000068D4: 7E7A03E2
	v_mov_b32_e32 v73, v226                                    // 0000000068D8: 7E9203E2
	v_mov_b32_e32 v62, v226                                    // 0000000068DC: 7E7C03E2
	v_mov_b32_e32 v74, v226                                    // 0000000068E0: 7E9403E2
	v_mov_b32_e32 v63, v226                                    // 0000000068E4: 7E7E03E2
	v_mov_b32_e32 v75, v226                                    // 0000000068E8: 7E9603E2
	s_branch label_0A4E                                        // 0000000068EC: BF820000

00000000000068f0 <label_0A4E>:
	s_waitcnt lgkmcnt(8)                                       // 0000000068F0: BF8CC87F
	s_barrier                                                  // 0000000068F4: BF8A0000
	v_mfma_f32_16x16x16_f16 v[76:79], v[108:109], a[72:73], 0  // 0000000068F8: D3CD004C 1202916C
	ds_read_b128 a[96:99], v14 offset:4352                     // 000000006900: DBFE1100 6000000E
	ds_read_b128 a[100:103], v14 offset:4864                   // 000000006908: DBFE1300 6400000E
	v_mfma_f32_16x16x16_f16 v[76:79], v[110:111], a[74:75], v[76:79]// 000000006910: D3CD004C 1532956E
	v_fma_f32 v52, v52, s57, -v140                             // 000000006918: D1CB0034 86307334
	v_fma_f32 v53, v53, s57, -v141                             // 000000006920: D1CB0035 86347335
	v_fma_f32 v54, v54, s57, -v142                             // 000000006928: D1CB0036 86387336
	v_fma_f32 v55, v55, s57, -v143                             // 000000006930: D1CB0037 863C7337
	v_fma_f32 v56, v56, s57, -v140                             // 000000006938: D1CB0038 86307338
	v_fma_f32 v57, v57, s57, -v141                             // 000000006940: D1CB0039 86347339
	v_mfma_f32_16x16x16_f16 v[76:79], v[112:113], a[76:77], v[76:79]// 000000006948: D3CD004C 15329970
	v_fma_f32 v58, v58, s57, -v142                             // 000000006950: D1CB003A 8638733A
	v_fma_f32 v59, v59, s57, -v143                             // 000000006958: D1CB003B 863C733B
	v_fma_f32 v60, v60, s57, -v140                             // 000000006960: D1CB003C 8630733C
	v_fma_f32 v61, v61, s57, -v141                             // 000000006968: D1CB003D 8634733D
	v_fma_f32 v62, v62, s57, -v142                             // 000000006970: D1CB003E 8638733E
	v_fma_f32 v63, v63, s57, -v143                             // 000000006978: D1CB003F 863C733F
	v_mfma_f32_16x16x16_f16 v[76:79], v[114:115], a[78:79], v[76:79]// 000000006980: D3CD004C 15329D72
	v_fma_f32 v64, v64, s57, -v144                             // 000000006988: D1CB0040 86407340
	v_fma_f32 v65, v65, s57, -v145                             // 000000006990: D1CB0041 86447341
	v_fma_f32 v66, v66, s57, -v146                             // 000000006998: D1CB0042 86487342
	v_fma_f32 v67, v67, s57, -v147                             // 0000000069A0: D1CB0043 864C7343
	v_fma_f32 v68, v68, s57, -v144                             // 0000000069A8: D1CB0044 86407344
	v_fma_f32 v69, v69, s57, -v145                             // 0000000069B0: D1CB0045 86447345
	v_mfma_f32_16x16x16_f16 v[80:83], v[108:109], a[80:81], 0  // 0000000069B8: D3CD0050 1202A16C
	ds_read_b128 a[104:107], v14 offset:6528                   // 0000000069C0: DBFE1980 6800000E
	ds_read_b128 a[108:111], v14 offset:7040                   // 0000000069C8: DBFE1B80 6C00000E
	v_mfma_f32_16x16x16_f16 v[80:83], v[110:111], a[82:83], v[80:83]// 0000000069D0: D3CD0050 1542A56E
	v_fma_f32 v70, v70, s57, -v146                             // 0000000069D8: D1CB0046 86487346
	v_fma_f32 v71, v71, s57, -v147                             // 0000000069E0: D1CB0047 864C7347
	v_fma_f32 v72, v72, s57, -v144                             // 0000000069E8: D1CB0048 86407348
	v_fma_f32 v73, v73, s57, -v145                             // 0000000069F0: D1CB0049 86447349
	v_fma_f32 v74, v74, s57, -v146                             // 0000000069F8: D1CB004A 8648734A
	v_fma_f32 v75, v75, s57, -v147                             // 000000006A00: D1CB004B 864C734B
	v_mfma_f32_16x16x16_f16 v[80:83], v[112:113], a[84:85], v[80:83]// 000000006A08: D3CD0050 1542A970
	v_exp_f32_e32 v52, v52                                     // 000000006A10: 7E684134
	v_exp_f32_e32 v53, v53                                     // 000000006A14: 7E6A4135
	v_mfma_f32_16x16x16_f16 v[80:83], v[114:115], a[86:87], v[80:83]// 000000006A18: D3CD0050 1542AD72
	v_exp_f32_e32 v54, v54                                     // 000000006A20: 7E6C4136
	v_exp_f32_e32 v55, v55                                     // 000000006A24: 7E6E4137
	v_mfma_f32_16x16x16_f16 v[84:87], v[108:109], a[88:89], 0  // 000000006A28: D3CD0054 1202B16C
	ds_read_b64 v[156:157], v21 offset:31232                   // 000000006A30: D8EC7A00 9C000015
	ds_read_b64 v[158:159], v21 offset:33280                   // 000000006A38: D8EC8200 9E000015
	v_mfma_f32_16x16x16_f16 v[84:87], v[110:111], a[90:91], v[84:87]// 000000006A40: D3CD0054 1552B56E
	v_exp_f32_e32 v56, v56                                     // 000000006A48: 7E704138
	v_exp_f32_e32 v57, v57                                     // 000000006A4C: 7E724139
	v_mfma_f32_16x16x16_f16 v[84:87], v[112:113], a[92:93], v[84:87]// 000000006A50: D3CD0054 1552B970
	ds_read_b64 v[160:161], v21 offset:35328                   // 000000006A58: D8EC8A00 A0000015
	ds_read_b64 v[162:163], v21 offset:37376                   // 000000006A60: D8EC9200 A2000015
	v_mfma_f32_16x16x16_f16 v[84:87], v[114:115], a[94:95], v[84:87]// 000000006A68: D3CD0054 1552BD72
	v_exp_f32_e32 v58, v58                                     // 000000006A70: 7E74413A
	v_exp_f32_e32 v59, v59                                     // 000000006A74: 7E76413B
	v_mfma_f32_16x16x16_f16 v[88:91], v[116:117], a[72:73], 0  // 000000006A78: D3CD0058 12029174
	v_exp_f32_e32 v60, v60                                     // 000000006A80: 7E78413C
	v_exp_f32_e32 v61, v61                                     // 000000006A84: 7E7A413D
	v_mfma_f32_16x16x16_f16 v[88:91], v[118:119], a[74:75], v[88:91]// 000000006A88: D3CD0058 15629576
	v_exp_f32_e32 v62, v62                                     // 000000006A90: 7E7C413E
	v_exp_f32_e32 v63, v63                                     // 000000006A94: 7E7E413F
	v_mfma_f32_16x16x16_f16 v[88:91], v[120:121], a[76:77], v[88:91]// 000000006A98: D3CD0058 15629978
	v_exp_f32_e32 v64, v64                                     // 000000006AA0: 7E804140
	v_exp_f32_e32 v65, v65                                     // 000000006AA4: 7E824141
	v_mfma_f32_16x16x16_f16 v[88:91], v[122:123], a[78:79], v[88:91]// 000000006AA8: D3CD0058 15629D7A
	v_exp_f32_e32 v66, v66                                     // 000000006AB0: 7E844142
	v_exp_f32_e32 v67, v67                                     // 000000006AB4: 7E864143
	v_mfma_f32_16x16x16_f16 v[92:95], v[116:117], a[80:81], 0  // 000000006AB8: D3CD005C 1202A174
	v_exp_f32_e32 v68, v68                                     // 000000006AC0: 7E884144
	v_exp_f32_e32 v69, v69                                     // 000000006AC4: 7E8A4145
	v_mfma_f32_16x16x16_f16 v[92:95], v[118:119], a[82:83], v[92:95]// 000000006AC8: D3CD005C 1572A576
	v_exp_f32_e32 v70, v70                                     // 000000006AD0: 7E8C4146
	v_exp_f32_e32 v71, v71                                     // 000000006AD4: 7E8E4147
	v_mfma_f32_16x16x16_f16 v[92:95], v[120:121], a[84:85], v[92:95]// 000000006AD8: D3CD005C 1572A978
	v_exp_f32_e32 v72, v72                                     // 000000006AE0: 7E904148
	v_exp_f32_e32 v73, v73                                     // 000000006AE4: 7E924149
	v_mfma_f32_16x16x16_f16 v[92:95], v[122:123], a[86:87], v[92:95]// 000000006AE8: D3CD005C 1572AD7A
	v_exp_f32_e32 v74, v74                                     // 000000006AF0: 7E94414A
	v_exp_f32_e32 v75, v75                                     // 000000006AF4: 7E96414B
	v_mfma_f32_16x16x16_f16 v[96:99], v[116:117], a[88:89], 0  // 000000006AF8: D3CD0060 1202B174
	v_cvt_pkrtz_f16_f32 v164, v52, v53                         // 000000006B00: D29600A4 00026B34
	v_cvt_pkrtz_f16_f32 v165, v54, v55                         // 000000006B08: D29600A5 00026F36
	v_cvt_pkrtz_f16_f32 v166, v56, v57                         // 000000006B10: D29600A6 00027338
	v_cvt_pkrtz_f16_f32 v167, v58, v59                         // 000000006B18: D29600A7 0002773A
	v_cvt_pkrtz_f16_f32 v168, v60, v61                         // 000000006B20: D29600A8 00027B3C
	v_cvt_pkrtz_f16_f32 v169, v62, v63                         // 000000006B28: D29600A9 00027F3E
	v_mfma_f32_16x16x16_f16 v[96:99], v[118:119], a[90:91], v[96:99]// 000000006B30: D3CD0060 1582B576
	v_cvt_pkrtz_f16_f32 v170, v64, v65                         // 000000006B38: D29600AA 00028340
	v_cvt_pkrtz_f16_f32 v171, v66, v67                         // 000000006B40: D29600AB 00028742
	v_cvt_pkrtz_f16_f32 v172, v68, v69                         // 000000006B48: D29600AC 00028B44
	v_cvt_pkrtz_f16_f32 v173, v70, v71                         // 000000006B50: D29600AD 00028F46
	v_cvt_pkrtz_f16_f32 v174, v72, v73                         // 000000006B58: D29600AE 00029348
	v_cvt_pkrtz_f16_f32 v175, v74, v75                         // 000000006B60: D29600AF 0002974A
	v_mfma_f32_16x16x16_f16 v[96:99], v[120:121], a[92:93], v[96:99]// 000000006B68: D3CD0060 1582B978
	v_add_u32_e32 v6, s66, v6                                  // 000000006B70: 680C0C42
	v_add_u32_e32 v7, s66, v7                                  // 000000006B74: 680E0E42
	v_add_u32_e32 v8, s66, v8                                  // 000000006B78: 68101042
	v_add_u32_e32 v9, s66, v9                                  // 000000006B7C: 68121242
	v_mfma_f32_16x16x16_f16 v[96:99], v[122:123], a[94:95], v[96:99]// 000000006B80: D3CD0060 1582BD7A
	s_waitcnt lgkmcnt(0)                                       // 000000006B88: BF8CC07F
	s_barrier                                                  // 000000006B8C: BF8A0000
	v_mfma_f32_16x16x16_f16 v[178:181], v[124:125], v[164:165], v[178:181]// 000000006B90: D3CD00B2 06CB497C
	v_subrev_f32_dpp v76, v176, v76 quad_perm:[0,0,0,0] row_mask:0xf bank_mask:0xf// 000000006B98: 069898FA FF0000B0
	v_subrev_f32_dpp v77, v176, v77 quad_perm:[1,1,1,1] row_mask:0xf bank_mask:0xf// 000000006BA0: 069A9AFA FF0055B0
	v_subrev_f32_dpp v78, v176, v78 quad_perm:[2,2,2,2] row_mask:0xf bank_mask:0xf// 000000006BA8: 069C9CFA FF00AAB0
	v_subrev_f32_dpp v79, v176, v79 quad_perm:[3,3,3,3] row_mask:0xf bank_mask:0xf// 000000006BB0: 069E9EFA FF00FFB0
	v_subrev_f32_dpp v80, v176, v80 quad_perm:[0,0,0,0] row_mask:0xf bank_mask:0xf// 000000006BB8: 06A0A0FA FF0000B0
	v_subrev_f32_dpp v81, v176, v81 quad_perm:[1,1,1,1] row_mask:0xf bank_mask:0xf// 000000006BC0: 06A2A2FA FF0055B0
	v_mfma_f32_16x16x16_f16 v[182:185], v[126:127], v[164:165], v[182:185]// 000000006BC8: D3CD00B6 06DB497E
	v_subrev_f32_dpp v82, v176, v82 quad_perm:[2,2,2,2] row_mask:0xf bank_mask:0xf// 000000006BD0: 06A4A4FA FF00AAB0
	v_subrev_f32_dpp v83, v176, v83 quad_perm:[3,3,3,3] row_mask:0xf bank_mask:0xf// 000000006BD8: 06A6A6FA FF00FFB0
	v_subrev_f32_dpp v84, v176, v84 quad_perm:[0,0,0,0] row_mask:0xf bank_mask:0xf// 000000006BE0: 06A8A8FA FF0000B0
	v_subrev_f32_dpp v85, v176, v85 quad_perm:[1,1,1,1] row_mask:0xf bank_mask:0xf// 000000006BE8: 06AAAAFA FF0055B0
	v_subrev_f32_dpp v86, v176, v86 quad_perm:[2,2,2,2] row_mask:0xf bank_mask:0xf// 000000006BF0: 06ACACFA FF00AAB0
	v_subrev_f32_dpp v87, v176, v87 quad_perm:[3,3,3,3] row_mask:0xf bank_mask:0xf// 000000006BF8: 06AEAEFA FF00FFB0
	v_mfma_f32_16x16x16_f16 v[186:189], v[128:129], v[164:165], v[186:189]// 000000006C00: D3CD00BA 06EB4980
	v_mul_f32_e32 v76, v52, v76                                // 000000006C08: 0A989934
	v_mul_f32_e32 v77, v53, v77                                // 000000006C0C: 0A9A9B35
	v_mul_f32_e32 v78, v54, v78                                // 000000006C10: 0A9C9D36
	v_mul_f32_e32 v79, v55, v79                                // 000000006C14: 0A9E9F37
	v_mul_f32_e32 v80, v56, v80                                // 000000006C18: 0AA0A138
	v_mul_f32_e32 v81, v57, v81                                // 000000006C1C: 0AA2A339
	v_mfma_f32_16x16x16_f16 v[190:193], v[130:131], v[164:165], v[190:193]// 000000006C20: D3CD00BE 06FB4982
	v_mul_f32_e32 v82, v58, v82                                // 000000006C28: 0AA4A53A
	v_mul_f32_e32 v83, v59, v83                                // 000000006C2C: 0AA6A73B
	v_mul_f32_e32 v84, v60, v84                                // 000000006C30: 0AA8A93C
	v_mul_f32_e32 v85, v61, v85                                // 000000006C34: 0AAAAB3D
	v_mul_f32_e32 v86, v62, v86                                // 000000006C38: 0AACAD3E
	v_mul_f32_e32 v87, v63, v87                                // 000000006C3C: 0AAEAF3F
	v_mfma_f32_16x16x16_f16 v[194:197], v[124:125], v[166:167], v[194:197]// 000000006C40: D3CD00C2 070B4D7C
	v_cvt_pkrtz_f16_f32 v76, v76, v77                          // 000000006C48: D296004C 00029B4C
	v_cvt_pkrtz_f16_f32 v77, v78, v79                          // 000000006C50: D296004D 00029F4E
	v_cvt_pkrtz_f16_f32 v78, v80, v81                          // 000000006C58: D296004E 0002A350
	v_cvt_pkrtz_f16_f32 v79, v82, v83                          // 000000006C60: D296004F 0002A752
	v_cvt_pkrtz_f16_f32 v80, v84, v85                          // 000000006C68: D2960050 0002AB54
	v_cvt_pkrtz_f16_f32 v81, v86, v87                          // 000000006C70: D2960051 0002AF56
	v_mfma_f32_16x16x16_f16 v[198:201], v[126:127], v[166:167], v[198:201]// 000000006C78: D3CD00C6 071B4D7E
	v_mov_b32_dpp v18, v76 quad_perm:[1,0,3,2] row_mask:0xf bank_mask:0xf// 000000006C80: 7E2402FA FF00B14C
	v_perm_b32 v52, v18, v76, v17                              // 000000006C88: D1ED0034 04469912
	v_mov_b32_dpp v18, v77 quad_perm:[1,0,3,2] row_mask:0xf bank_mask:0xf// 000000006C90: 7E2402FA FF00B14D
	v_perm_b32 v53, v18, v77, v17                              // 000000006C98: D1ED0035 04469B12
	v_mov_b32_dpp v18, v78 quad_perm:[1,0,3,2] row_mask:0xf bank_mask:0xf// 000000006CA0: 7E2402FA FF00B14E
	v_perm_b32 v54, v18, v78, v17                              // 000000006CA8: D1ED0036 04469D12
	v_mfma_f32_16x16x16_f16 v[202:205], v[128:129], v[166:167], v[202:205]// 000000006CB0: D3CD00CA 072B4D80
	v_mov_b32_dpp v18, v79 quad_perm:[1,0,3,2] row_mask:0xf bank_mask:0xf// 000000006CB8: 7E2402FA FF00B14F
	v_perm_b32 v55, v18, v79, v17                              // 000000006CC0: D1ED0037 04469F12
	v_mov_b32_dpp v18, v80 quad_perm:[1,0,3,2] row_mask:0xf bank_mask:0xf// 000000006CC8: 7E2402FA FF00B150
	v_perm_b32 v56, v18, v80, v17                              // 000000006CD0: D1ED0038 0446A112
	v_mov_b32_dpp v18, v81 quad_perm:[1,0,3,2] row_mask:0xf bank_mask:0xf// 000000006CD8: 7E2402FA FF00B151
	v_perm_b32 v57, v18, v81, v17                              // 000000006CE0: D1ED0039 0446A312
	v_mfma_f32_16x16x16_f16 v[206:209], v[130:131], v[166:167], v[206:209]// 000000006CE8: D3CD00CE 073B4D82
	ds_write_b32 v20, v52 offset:17408                         // 000000006CF0: D81A4400 00003414
	ds_write_b32 v20, v53 offset:17952                         // 000000006CF8: D81A4620 00003514
	v_mfma_f32_16x16x16_f16 v[210:213], v[124:125], v[168:169], v[210:213]// 000000006D00: D3CD00D2 074B517C
	v_subrev_f32_dpp v88, v177, v88 quad_perm:[0,0,0,0] row_mask:0xf bank_mask:0xf// 000000006D08: 06B0B0FA FF0000B1
	v_subrev_f32_dpp v89, v177, v89 quad_perm:[1,1,1,1] row_mask:0xf bank_mask:0xf// 000000006D10: 06B2B2FA FF0055B1
	v_subrev_f32_dpp v90, v177, v90 quad_perm:[2,2,2,2] row_mask:0xf bank_mask:0xf// 000000006D18: 06B4B4FA FF00AAB1
	v_subrev_f32_dpp v91, v177, v91 quad_perm:[3,3,3,3] row_mask:0xf bank_mask:0xf// 000000006D20: 06B6B6FA FF00FFB1
	v_subrev_f32_dpp v92, v177, v92 quad_perm:[0,0,0,0] row_mask:0xf bank_mask:0xf// 000000006D28: 06B8B8FA FF0000B1
	v_subrev_f32_dpp v93, v177, v93 quad_perm:[1,1,1,1] row_mask:0xf bank_mask:0xf// 000000006D30: 06BABAFA FF0055B1
	v_mfma_f32_16x16x16_f16 v[214:217], v[126:127], v[168:169], v[214:217]// 000000006D38: D3CD00D6 075B517E
	ds_write_b32 v20, v54 offset:19712                         // 000000006D40: D81A4D00 00003614
	ds_write_b32 v20, v55 offset:20256                         // 000000006D48: D81A4F20 00003714
	v_mfma_f32_16x16x16_f16 v[218:221], v[128:129], v[168:169], v[218:221]// 000000006D50: D3CD00DA 076B5180
	v_subrev_f32_dpp v94, v177, v94 quad_perm:[2,2,2,2] row_mask:0xf bank_mask:0xf// 000000006D58: 06BCBCFA FF00AAB1
	v_subrev_f32_dpp v95, v177, v95 quad_perm:[3,3,3,3] row_mask:0xf bank_mask:0xf// 000000006D60: 06BEBEFA FF00FFB1
	v_subrev_f32_dpp v96, v177, v96 quad_perm:[0,0,0,0] row_mask:0xf bank_mask:0xf// 000000006D68: 06C0C0FA FF0000B1
	v_subrev_f32_dpp v97, v177, v97 quad_perm:[1,1,1,1] row_mask:0xf bank_mask:0xf// 000000006D70: 06C2C2FA FF0055B1
	v_subrev_f32_dpp v98, v177, v98 quad_perm:[2,2,2,2] row_mask:0xf bank_mask:0xf// 000000006D78: 06C4C4FA FF00AAB1
	v_subrev_f32_dpp v99, v177, v99 quad_perm:[3,3,3,3] row_mask:0xf bank_mask:0xf// 000000006D80: 06C6C6FA FF00FFB1
	v_mfma_f32_16x16x16_f16 v[222:225], v[130:131], v[168:169], v[222:225]// 000000006D88: D3CD00DE 077B5182
	ds_write_b32 v20, v56 offset:22016                         // 000000006D90: D81A5600 00003814
	ds_write_b32 v20, v57 offset:22560                         // 000000006D98: D81A5820 00003914
	v_mfma_f32_16x16x16_f16 v[178:181], v[132:133], v[170:171], v[178:181]// 000000006DA0: D3CD00B2 06CB5584
	v_mul_f32_e32 v88, v64, v88                                // 000000006DA8: 0AB0B140
	v_mul_f32_e32 v89, v65, v89                                // 000000006DAC: 0AB2B341
	v_mul_f32_e32 v90, v66, v90                                // 000000006DB0: 0AB4B542
	v_mul_f32_e32 v91, v67, v91                                // 000000006DB4: 0AB6B743
	v_mul_f32_e32 v92, v68, v92                                // 000000006DB8: 0AB8B944
	v_mul_f32_e32 v93, v69, v93                                // 000000006DBC: 0ABABB45
	v_mfma_f32_16x16x16_f16 v[182:185], v[134:135], v[170:171], v[182:185]// 000000006DC0: D3CD00B6 06DB5586
	v_mul_f32_e32 v94, v70, v94                                // 000000006DC8: 0ABCBD46
	v_mul_f32_e32 v95, v71, v95                                // 000000006DCC: 0ABEBF47
	v_mul_f32_e32 v96, v72, v96                                // 000000006DD0: 0AC0C148
	v_mul_f32_e32 v97, v73, v97                                // 000000006DD4: 0AC2C349
	v_mul_f32_e32 v98, v74, v98                                // 000000006DD8: 0AC4C54A
	v_mul_f32_e32 v99, v75, v99                                // 000000006DDC: 0AC6C74B
	v_mfma_f32_16x16x16_f16 v[186:189], v[136:137], v[170:171], v[186:189]// 000000006DE0: D3CD00BA 06EB5588
	v_cvt_pkrtz_f16_f32 v82, v88, v89                          // 000000006DE8: D2960052 0002B358
	v_cvt_pkrtz_f16_f32 v83, v90, v91                          // 000000006DF0: D2960053 0002B75A
	v_cvt_pkrtz_f16_f32 v84, v92, v93                          // 000000006DF8: D2960054 0002BB5C
	v_cvt_pkrtz_f16_f32 v85, v94, v95                          // 000000006E00: D2960055 0002BF5E
	v_cvt_pkrtz_f16_f32 v86, v96, v97                          // 000000006E08: D2960056 0002C360
	v_cvt_pkrtz_f16_f32 v87, v98, v99                          // 000000006E10: D2960057 0002C762
	v_mfma_f32_16x16x16_f16 v[190:193], v[138:139], v[170:171], v[190:193]// 000000006E18: D3CD00BE 06FB558A
	v_mov_b32_dpp v18, v82 quad_perm:[1,0,3,2] row_mask:0xf bank_mask:0xf// 000000006E20: 7E2402FA FF00B152
	v_perm_b32 v58, v18, v82, v17                              // 000000006E28: D1ED003A 0446A512
	v_mov_b32_dpp v18, v83 quad_perm:[1,0,3,2] row_mask:0xf bank_mask:0xf// 000000006E30: 7E2402FA FF00B153
	v_perm_b32 v59, v18, v83, v17                              // 000000006E38: D1ED003B 0446A712
	v_mov_b32_dpp v18, v84 quad_perm:[1,0,3,2] row_mask:0xf bank_mask:0xf// 000000006E40: 7E2402FA FF00B154
	v_perm_b32 v60, v18, v84, v17                              // 000000006E48: D1ED003C 0446A912
	v_mfma_f32_16x16x16_f16 v[194:197], v[132:133], v[172:173], v[194:197]// 000000006E50: D3CD00C2 070B5984
	v_mov_b32_dpp v18, v85 quad_perm:[1,0,3,2] row_mask:0xf bank_mask:0xf// 000000006E58: 7E2402FA FF00B155
	v_perm_b32 v61, v18, v85, v17                              // 000000006E60: D1ED003D 0446AB12
	v_mov_b32_dpp v18, v86 quad_perm:[1,0,3,2] row_mask:0xf bank_mask:0xf// 000000006E68: 7E2402FA FF00B156
	v_perm_b32 v62, v18, v86, v17                              // 000000006E70: D1ED003E 0446AD12
	v_mov_b32_dpp v18, v87 quad_perm:[1,0,3,2] row_mask:0xf bank_mask:0xf// 000000006E78: 7E2402FA FF00B157
	v_perm_b32 v63, v18, v87, v17                              // 000000006E80: D1ED003F 0446AF12
	v_mfma_f32_16x16x16_f16 v[198:201], v[134:135], v[172:173], v[198:201]// 000000006E88: D3CD00C6 071B5986
	ds_write_b32 v20, v58 offset:24320                         // 000000006E90: D81A5F00 00003A14
	ds_write_b32 v20, v59 offset:24864                         // 000000006E98: D81A6120 00003B14
	v_mfma_f32_16x16x16_f16 v[202:205], v[136:137], v[172:173], v[202:205]// 000000006EA0: D3CD00CA 072B5988
	v_mfma_f32_16x16x16_f16 v[206:209], v[138:139], v[172:173], v[206:209]// 000000006EA8: D3CD00CE 073B598A
	ds_write_b32 v20, v60 offset:26624                         // 000000006EB0: D81A6800 00003C14
	ds_write_b32 v20, v61 offset:27168                         // 000000006EB8: D81A6A20 00003D14
	ds_write_b32 v20, v62 offset:28928                         // 000000006EC0: D81A7100 00003E14
	ds_write_b32 v20, v63 offset:29472                         // 000000006EC8: D81A7320 00003F14
	v_mfma_f32_16x16x16_f16 v[210:213], v[132:133], v[174:175], v[210:213]// 000000006ED0: D3CD00D2 074B5D84
	v_mfma_f32_16x16x16_f16 v[214:217], v[134:135], v[174:175], v[214:217]// 000000006ED8: D3CD00D6 075B5D86
	ds_write_b32 v15, v100 offset:4352                         // 000000006EE0: D81A1100 0000640F
	ds_write_b32 v15, v101 offset:5408                         // 000000006EE8: D81A1520 0000650F
	v_mfma_f32_16x16x16_f16 v[218:221], v[136:137], v[174:175], v[218:221]// 000000006EF0: D3CD00DA 076B5D88
	s_nop 0                                                    // 000000006EF8: BF800000
	s_nop 0                                                    // 000000006EFC: BF800000
	s_nop 0                                                    // 000000006F00: BF800000
	v_mfma_f32_16x16x16_f16 v[222:225], v[138:139], v[174:175], v[222:225]// 000000006F04: D3CD00DE 077B5D8A
	ds_write_b32 v15, v102 offset:6528                         // 000000006F0C: D81A1980 0000660F
	ds_write_b32 v15, v103 offset:7584                         // 000000006F14: D81A1DA0 0000670F
	s_barrier                                                  // 000000006F1C: BF8A0000
	v_mfma_f32_16x16x16_f16 a[112:115], a[96:97], v[76:77], a[112:115]// 000000006F20: D3CD8070 0DC29960
	buffer_atomic_add_f32 v156, v6, s[32:35], 0 idxen          // 000000006F28: E1342000 80089C06
	v_mfma_f32_16x16x16_f16 a[116:119], a[98:99], v[76:77], a[116:119]// 000000006F30: D3CD8074 0DD29962
	ds_read_b32 v140, v23 offset:39424                         // 000000006F38: D86C9A00 8C000017
	ds_read_b32 v144, v23 offset:39488                         // 000000006F40: D86C9A40 90000017
	ds_read_b32 v176, v23 offset:39680                         // 000000006F48: D86C9B00 B0000017
	ds_read_b32 v177, v23 offset:39744                         // 000000006F50: D86C9B40 B1000017
	v_mfma_f32_16x16x16_f16 a[120:123], a[100:101], v[76:77], a[120:123]// 000000006F58: D3CD8078 0DE29964
	s_waitcnt lgkmcnt(8)                                       // 000000006F60: BF8CC87F
	s_barrier                                                  // 000000006F64: BF8A0000
	v_mfma_f32_16x16x16_f16 a[124:127], a[102:103], v[76:77], a[124:127]// 000000006F68: D3CD807C 0DF29966
	ds_read_b128 v[52:55], v19 offset:17408                    // 000000006F70: D9FE4400 34000013
	v_mfma_f32_16x16x16_f16 a[128:131], a[96:97], v[78:79], a[128:131]// 000000006F78: D3CD8080 0E029D60
	v_mfma_f32_16x16x16_f16 a[132:135], a[98:99], v[78:79], a[132:135]// 000000006F80: D3CD8084 0E129D62
	ds_read_b128 v[56:59], v19 offset:18560                    // 000000006F88: D9FE4880 38000013
	v_mfma_f32_16x16x16_f16 a[136:139], a[100:101], v[78:79], a[136:139]// 000000006F90: D3CD8088 0E229D64
	buffer_atomic_add_f32 v157, v7, s[32:35], 0 idxen          // 000000006F98: E1342000 80089D07
	v_mfma_f32_16x16x16_f16 a[140:143], a[102:103], v[78:79], a[140:143]// 000000006FA0: D3CD808C 0E329D66
	ds_read_b128 v[60:63], v19 offset:19712                    // 000000006FA8: D9FE4D00 3C000013
	v_mfma_f32_16x16x16_f16 a[144:147], a[96:97], v[80:81], a[144:147]// 000000006FB0: D3CD8090 0E42A160
	v_mfma_f32_16x16x16_f16 a[148:151], a[98:99], v[80:81], a[148:151]// 000000006FB8: D3CD8094 0E52A162
	ds_read_b128 v[64:67], v19 offset:20864                    // 000000006FC0: D9FE5180 40000013
	v_mfma_f32_16x16x16_f16 a[152:155], a[100:101], v[80:81], a[152:155]// 000000006FC8: D3CD8098 0E62A164
	v_mfma_f32_16x16x16_f16 a[156:159], a[102:103], v[80:81], a[156:159]// 000000006FD0: D3CD809C 0E72A166
	ds_read_b128 v[68:71], v19 offset:22016                    // 000000006FD8: D9FE5600 44000013
	v_mfma_f32_16x16x16_f16 a[112:115], a[104:105], v[82:83], a[112:115]// 000000006FE0: D3CD8070 0DC2A568
	buffer_atomic_add_f32 v158, v6, s[32:35], 0 idxen offset:128// 000000006FE8: E1342080 80089E06
	v_mfma_f32_16x16x16_f16 a[116:119], a[106:107], v[82:83], a[116:119]// 000000006FF0: D3CD8074 0DD2A56A
	ds_read_b128 v[72:75], v19 offset:23168                    // 000000006FF8: D9FE5A80 48000013
	v_mfma_f32_16x16x16_f16 a[120:123], a[108:109], v[82:83], a[120:123]// 000000007000: D3CD8078 0DE2A56C
	v_mfma_f32_16x16x16_f16 a[124:127], a[110:111], v[82:83], a[124:127]// 000000007008: D3CD807C 0DF2A56E
	ds_write_b32 v15, v104 offset:13056                        // 000000007010: D81A3300 0000680F
	v_mfma_f32_16x16x16_f16 a[128:131], a[104:105], v[84:85], a[128:131]// 000000007018: D3CD8080 0E02A968
	v_mfma_f32_16x16x16_f16 a[132:135], a[106:107], v[84:85], a[132:135]// 000000007020: D3CD8084 0E12A96A
	ds_write_b32 v15, v105 offset:14112                        // 000000007028: D81A3720 0000690F
	v_mfma_f32_16x16x16_f16 a[136:139], a[108:109], v[84:85], a[136:139]// 000000007030: D3CD8088 0E22A96C
	buffer_atomic_add_f32 v159, v7, s[32:35], 0 idxen offset:128// 000000007038: E1342080 80089F07
	v_mfma_f32_16x16x16_f16 a[140:143], a[110:111], v[84:85], a[140:143]// 000000007040: D3CD808C 0E32A96E
	ds_write_b32 v15, v106 offset:15232                        // 000000007048: D81A3B80 00006A0F
	v_mfma_f32_16x16x16_f16 a[144:147], a[104:105], v[86:87], a[144:147]// 000000007050: D3CD8090 0E42AD68
	v_mfma_f32_16x16x16_f16 a[148:151], a[106:107], v[86:87], a[148:151]// 000000007058: D3CD8094 0E52AD6A
	ds_write_b32 v15, v107 offset:16288                        // 000000007060: D81A3FA0 00006B0F
	v_mfma_f32_16x16x16_f16 a[152:155], a[108:109], v[86:87], a[152:155]// 000000007068: D3CD8098 0E62AD6C
	v_mfma_f32_16x16x16_f16 a[156:159], a[110:111], v[86:87], a[156:159]// 000000007070: D3CD809C 0E72AD6E
	s_waitcnt vmcnt(8) lgkmcnt(4)                              // 000000007078: BF8C0478
	s_barrier                                                  // 00000000707C: BF8A0000
	v_mfma_f32_16x16x16_f16 v[148:151], v[52:53], a[24:25], 0  // 000000007080: D3CD0094 12023134
	v_mul_f32_e32 v140, s48, v140                              // 000000007088: 0B191830
	v_mul_f32_e32 v144, s48, v144                              // 00000000708C: 0B212030
	s_nop 0                                                    // 000000007090: BF800000
	v_mfma_f32_16x16x16_f16 v[148:151], v[54:55], a[28:29], v[148:151]// 000000007094: D3CD0094 16523936
	ds_read_b128 a[96:99], v12                                 // 00000000709C: DBFE0000 6000000C
	buffer_load_dword v36, v1, s[8:11], 0 idxen                // 0000000070A4: E0502000 80022401
	v_mfma_f32_16x16x16_f16 v[148:151], v[56:57], a[32:33], v[148:151]// 0000000070AC: D3CD0094 16524138
	v_mfma_f32_16x16x16_f16 v[148:151], v[58:59], a[36:37], v[148:151]// 0000000070B4: D3CD0094 1652493A
	ds_read_b128 a[100:103], v12 offset:512                    // 0000000070BC: DBFE0200 6400000C
	buffer_load_dword v37, v2, s[8:11], 0 idxen                // 0000000070C4: E0502000 80022502
	v_mfma_f32_16x16x16_f16 v[148:151], v[60:61], a[40:41], v[148:151]// 0000000070CC: D3CD0094 1652513C
	v_perm_b32 v100, v41, v40, s63                             // 0000000070D4: D1ED0064 00FE5129
	v_perm_b32 v101, v41, v40, s64                             // 0000000070DC: D1ED0065 01025129
	v_mfma_f32_16x16x16_f16 v[148:151], v[62:63], a[44:45], v[148:151]// 0000000070E4: D3CD0094 1652593E
	ds_read_b128 a[104:107], v12 offset:2176                   // 0000000070EC: DBFE0880 6800000C
	buffer_load_dword v38, v3, s[8:11], 0 idxen                // 0000000070F4: E0502000 80022603
	v_mfma_f32_16x16x16_f16 v[148:151], v[64:65], a[48:49], v[148:151]// 0000000070FC: D3CD0094 16526140
	v_perm_b32 v102, v43, v42, s63                             // 000000007104: D1ED0066 00FE552B
	v_perm_b32 v103, v43, v42, s64                             // 00000000710C: D1ED0067 0102552B
	v_mfma_f32_16x16x16_f16 v[148:151], v[66:67], a[52:53], v[148:151]// 000000007114: D3CD0094 16526942
	ds_read_b128 a[108:111], v12 offset:2688                   // 00000000711C: DBFE0A80 6C00000C
	buffer_load_dword v39, v4, s[8:11], 0 idxen                // 000000007124: E0502000 80022704
	v_mfma_f32_16x16x16_f16 v[148:151], v[68:69], a[56:57], v[148:151]// 00000000712C: D3CD0094 16527144
	v_perm_b32 v104, v49, v48, s63                             // 000000007134: D1ED0068 00FE6131
	v_perm_b32 v105, v49, v48, s64                             // 00000000713C: D1ED0069 01026131
	v_mfma_f32_16x16x16_f16 v[148:151], v[70:71], a[60:61], v[148:151]// 000000007144: D3CD0094 16527946
	ds_read_b128 v[108:111], v12 offset:8704                   // 00000000714C: D9FE2200 6C00000C
	buffer_load_dword v44, v227, s[20:23], 0 idxen             // 000000007154: E0502000 80052CE3
	v_mfma_f32_16x16x16_f16 v[148:151], v[72:73], a[64:65], v[148:151]// 00000000715C: D3CD0094 16528148
	v_perm_b32 v106, v51, v50, s63                             // 000000007164: D1ED006A 00FE6533
	v_perm_b32 v107, v51, v50, s64                             // 00000000716C: D1ED006B 01026533
	v_mfma_f32_16x16x16_f16 v[148:151], v[74:75], a[68:69], v[148:151]// 000000007174: D3CD0094 1652894A
	ds_read_b128 v[112:115], v12 offset:9216                   // 00000000717C: D9FE2400 7000000C
	buffer_load_dword v45, v228, s[20:23], 0 idxen             // 000000007184: E0502000 80052DE4
	v_mfma_f32_16x16x16_f16 v[152:155], v[52:53], a[26:27], 0  // 00000000718C: D3CD0098 12023534
	v_mov_b32_dpp v143, v140 quad_perm:[3,3,3,3] row_mask:0xf bank_mask:0xf// 000000007194: 7F1E02FA FF00FF8C
	v_mov_b32_dpp v142, v140 quad_perm:[2,2,2,2] row_mask:0xf bank_mask:0xf// 00000000719C: 7F1C02FA FF00AA8C
	v_mov_b32_dpp v141, v140 quad_perm:[1,1,1,1] row_mask:0xf bank_mask:0xf// 0000000071A4: 7F1A02FA FF00558C
	v_mov_b32_dpp v140, v140 quad_perm:[0,0,0,0] row_mask:0xf bank_mask:0xf// 0000000071AC: 7F1802FA FF00008C
	v_mfma_f32_16x16x16_f16 v[152:155], v[54:55], a[30:31], v[152:155]// 0000000071B4: D3CD0098 16623D36
	ds_read_b128 v[116:119], v12 offset:10880                  // 0000000071BC: D9FE2A80 7400000C
	buffer_load_dword v46, v229, s[20:23], 0 idxen             // 0000000071C4: E0502000 80052EE5
	v_mfma_f32_16x16x16_f16 v[152:155], v[56:57], a[34:35], v[152:155]// 0000000071CC: D3CD0098 16624538
	v_mov_b32_dpp v147, v144 quad_perm:[3,3,3,3] row_mask:0xf bank_mask:0xf// 0000000071D4: 7F2602FA FF00FF90
	v_mov_b32_dpp v146, v144 quad_perm:[2,2,2,2] row_mask:0xf bank_mask:0xf// 0000000071DC: 7F2402FA FF00AA90
	v_mov_b32_dpp v145, v144 quad_perm:[1,1,1,1] row_mask:0xf bank_mask:0xf// 0000000071E4: 7F2202FA FF005590
	v_mov_b32_dpp v144, v144 quad_perm:[0,0,0,0] row_mask:0xf bank_mask:0xf// 0000000071EC: 7F2002FA FF000090
	s_add_u32 s60, 0x80, s59                                   // 0000000071F4: 803C3BFF 00000080
	v_mfma_f32_16x16x16_f16 v[152:155], v[58:59], a[38:39], v[152:155]// 0000000071FC: D3CD0098 16624D3A
	ds_read_b128 v[120:123], v12 offset:11392                  // 000000007204: D9FE2C80 7800000C
	buffer_load_dword v47, v230, s[20:23], 0 idxen             // 00000000720C: E0502000 80052FE6
	v_mfma_f32_16x16x16_f16 v[152:155], v[60:61], a[42:43], v[152:155]// 000000007214: D3CD0098 1662553C
	s_cmp_lt_u32 s60, s58                                      // 00000000721C: BF0A3A3C
	s_cselect_b32 s68, s68, 0                                  // 000000007220: 85448044
	s_cselect_b32 s81, s81, 0                                  // 000000007224: 85518051
	s_cselect_b32 s69, s69, 0                                  // 000000007228: 85458045
	v_mfma_f32_16x16x16_f16 v[152:155], v[62:63], a[46:47], v[152:155]// 00000000722C: D3CD0098 16625D3E
	buffer_load_dword v11, s[24:27], 0 idxen lds               // 000000007234: E0512000 8006000B
	v_mfma_f32_16x16x16_f16 v[152:155], v[64:65], a[50:51], v[152:155]// 00000000723C: D3CD0098 16626540
	v_add_u32_e32 v1, s68, v1                                  // 000000007244: 68020244
	v_add_u32_e32 v2, s68, v2                                  // 000000007248: 68040444
	v_add_u32_e32 v3, s68, v3                                  // 00000000724C: 68060644
	v_add_u32_e32 v4, s68, v4                                  // 000000007250: 68080844
	v_mfma_f32_16x16x16_f16 v[152:155], v[66:67], a[54:55], v[152:155]// 000000007254: D3CD0098 16626D42
	v_add_u32_e32 v227, s81, v227                              // 00000000725C: 69C7C651
	v_add_u32_e32 v228, s81, v228                              // 000000007260: 69C9C851
	v_add_u32_e32 v229, s81, v229                              // 000000007264: 69CBCA51
	v_add_u32_e32 v230, s81, v230                              // 000000007268: 69CDCC51
	v_mfma_f32_16x16x16_f16 v[152:155], v[68:69], a[58:59], v[152:155]// 00000000726C: D3CD0098 16627544
	s_mov_b32 m0, s75                                          // 000000007274: BEFC004B
	v_add_u32_e32 v11, s69, v11                                // 000000007278: 68161645
	v_mfma_f32_16x16x16_f16 v[152:155], v[70:71], a[62:63], v[152:155]// 00000000727C: D3CD0098 16627D46
	s_cmp_ge_u32 s59, 32                                       // 000000007284: BF09A03B
	s_cselect_b32 s66, s67, s66                                // 000000007288: 85424243
	v_mfma_f32_16x16x16_f16 v[152:155], v[72:73], a[66:67], v[152:155]// 00000000728C: D3CD0098 16628548
	s_addk_i32 s59, 0x20                                       // 000000007294: B73B0020
	s_nop 0                                                    // 000000007298: BF800000
	s_cmp_lt_i32 s59, s58                                      // 00000000729C: BF043A3B
	v_mfma_f32_16x16x16_f16 v[152:155], v[74:75], a[70:71], v[152:155]// 0000000072A0: D3CD0098 16628D4A
	s_cbranch_scc0 label_0CBE                                  // 0000000072A8: BF840001
	s_branch label_0629                                        // 0000000072AC: BF82F97D

00000000000072b0 <label_0CBE>:
	s_nop 0                                                    // 0000000072B0: BF800000
	s_nop 0                                                    // 0000000072B4: BF800000
	s_branch label_1356                                        // 0000000072B8: BF820683

00000000000072bc <label_0CC1>:
	s_waitcnt lgkmcnt(4)                                       // 0000000072BC: BF8CC47F
	s_barrier                                                  // 0000000072C0: BF8A0000
	v_mfma_f32_16x16x16_f16 v[52:55], a[96:97], a[0:1], 0      // 0000000072C4: D3CD0034 1A020160
	v_mul_f32_e32 v148, s47, v148                              // 0000000072CC: 0B29282F
	v_mul_f32_e32 v149, s47, v149                              // 0000000072D0: 0B2B2A2F
	v_mfma_f32_16x16x16_f16 v[52:55], a[98:99], a[2:3], v[52:55]// 0000000072D4: D3CD0034 1CD20562
	ds_write_b32 v13, v48 offset:8704                          // 0000000072DC: D81A2200 0000300D
	ds_write_b32 v13, v49 offset:9760                          // 0000000072E4: D81A2620 0000310D
	v_mfma_f32_16x16x16_f16 v[52:55], a[100:101], a[4:5], v[52:55]// 0000000072EC: D3CD0034 1CD20964
	v_mul_f32_e32 v150, s47, v150                              // 0000000072F4: 0B2D2C2F
	v_mul_f32_e32 v151, s47, v151                              // 0000000072F8: 0B2F2E2F
	v_mfma_f32_16x16x16_f16 v[52:55], a[102:103], a[6:7], v[52:55]// 0000000072FC: D3CD0034 1CD20D66
	ds_write_b32 v13, v50 offset:10880                         // 000000007304: D81A2A80 0000320D
	ds_write_b32 v13, v51 offset:11936                         // 00000000730C: D81A2EA0 0000330D
	v_mfma_f32_16x16x16_f16 v[56:59], a[96:97], a[8:9], 0      // 000000007314: D3CD0038 1A021160
	v_mul_f32_e32 v152, s47, v152                              // 00000000731C: 0B31302F
	v_mul_f32_e32 v153, s47, v153                              // 000000007320: 0B33322F
	v_mfma_f32_16x16x16_f16 v[56:59], a[98:99], a[10:11], v[56:59]// 000000007324: D3CD0038 1CE21562
	ds_write_b64 v22, v[148:149] offset:31232                  // 00000000732C: D89A7A00 00009416
	v_mfma_f32_16x16x16_f16 v[56:59], a[100:101], a[12:13], v[56:59]// 000000007334: D3CD0038 1CE21964
	v_mul_f32_e32 v154, s47, v154                              // 00000000733C: 0B35342F
	v_mul_f32_e32 v155, s47, v155                              // 000000007340: 0B37362F
	v_mfma_f32_16x16x16_f16 v[56:59], a[102:103], a[14:15], v[56:59]// 000000007344: D3CD0038 1CE21D66
	ds_write_b64 v22, v[150:151] offset:31744                  // 00000000734C: D89A7C00 00009616
	v_mfma_f32_16x16x16_f16 v[60:63], a[96:97], a[16:17], 0    // 000000007354: D3CD003C 1A022160
	buffer_atomic_add_f32 v160, v8, s[32:35], 0 idxen          // 00000000735C: E1342000 8008A008
	v_mfma_f32_16x16x16_f16 v[60:63], a[98:99], a[18:19], v[60:63]// 000000007364: D3CD003C 1CF22562
	ds_write_b64 v22, v[152:153] offset:32256                  // 00000000736C: D89A7E00 00009816
	v_mfma_f32_16x16x16_f16 v[60:63], a[100:101], a[20:21], v[60:63]// 000000007374: D3CD003C 1CF22964
	v_mfma_f32_16x16x16_f16 v[60:63], a[102:103], a[22:23], v[60:63]// 00000000737C: D3CD003C 1CF22D66
	ds_write_b64 v22, v[154:155] offset:32768                  // 000000007384: D89A8000 00009A16
	v_mfma_f32_16x16x16_f16 v[64:67], a[104:105], a[0:1], 0    // 00000000738C: D3CD0040 1A020168
	buffer_atomic_add_f32 v161, v9, s[32:35], 0 idxen          // 000000007394: E1342000 8008A109
	v_mfma_f32_16x16x16_f16 v[64:67], a[106:107], a[2:3], v[64:67]// 00000000739C: D3CD0040 1D02056A
	ds_read_b128 v[124:127], v14 offset:13056                  // 0000000073A4: D9FE3300 7C00000E
	ds_write_b32 v13, v40                                      // 0000000073AC: D81A0000 0000280D
	v_mfma_f32_16x16x16_f16 v[64:67], a[108:109], a[4:5], v[64:67]// 0000000073B4: D3CD0040 1D02096C
	v_mfma_f32_16x16x16_f16 v[64:67], a[110:111], a[6:7], v[64:67]// 0000000073BC: D3CD0040 1D020D6E
	v_mfma_f32_16x16x16_f16 v[68:71], a[104:105], a[8:9], 0    // 0000000073C4: D3CD0044 1A021168
	ds_read_b128 v[128:131], v14 offset:13568                  // 0000000073CC: D9FE3500 8000000E
	ds_write_b32 v13, v41 offset:1056                          // 0000000073D4: D81A0420 0000290D
	v_mfma_f32_16x16x16_f16 v[68:71], a[106:107], a[10:11], v[68:71]// 0000000073DC: D3CD0044 1D12156A
	buffer_atomic_add_f32 v162, v8, s[32:35], 0 idxen offset:128// 0000000073E4: E1342080 8008A208
	v_mfma_f32_16x16x16_f16 v[68:71], a[108:109], a[12:13], v[68:71]// 0000000073EC: D3CD0044 1D12196C
	v_mfma_f32_16x16x16_f16 v[68:71], a[110:111], a[14:15], v[68:71]// 0000000073F4: D3CD0044 1D121D6E
	ds_read_b128 v[132:135], v14 offset:15232                  // 0000000073FC: D9FE3B80 8400000E
	ds_write_b32 v13, v42 offset:2176                          // 000000007404: D81A0880 00002A0D
	v_mfma_f32_16x16x16_f16 v[72:75], a[104:105], a[16:17], 0  // 00000000740C: D3CD0048 1A022168
	v_mfma_f32_16x16x16_f16 v[72:75], a[106:107], a[18:19], v[72:75]// 000000007414: D3CD0048 1D22256A
	buffer_atomic_add_f32 v163, v9, s[32:35], 0 idxen offset:128// 00000000741C: E1342080 8008A309
	v_mfma_f32_16x16x16_f16 v[72:75], a[108:109], a[20:21], v[72:75]// 000000007424: D3CD0048 1D22296C
	ds_read_b128 v[136:139], v14 offset:15744                  // 00000000742C: D9FE3D80 8800000E
	ds_write_b32 v13, v43 offset:3232                          // 000000007434: D81A0CA0 00002B0D
	v_mfma_f32_16x16x16_f16 v[72:75], a[110:111], a[22:23], v[72:75]// 00000000743C: D3CD0048 1D222D6E
	s_cmp_lt_i32 s83, 0xc0                                     // 000000007444: BF04FF53 000000C0
	s_cbranch_scc0 label_0D9C                                  // 00000000744C: BF84006D
	s_cmp_le_i32 s83, 64                                       // 000000007450: BF05C053
	s_cbranch_scc1 label_0D2F                                  // 000000007454: BF850007
	s_cmp_le_i32 s83, 0x80                                     // 000000007458: BF05FF53 00000080
	s_cbranch_scc1 label_0D53                                  // 000000007460: BF85001F
	s_cmp_lt_i32 s83, 0xc0                                     // 000000007464: BF04FF53 000000C0
	s_cbranch_scc1 label_0D77                                  // 00000000746C: BF850040
	s_branch label_0D9C                                        // 000000007470: BF820064

0000000000007474 <label_0D2F>:
	s_mov_b32 s60, 0                                           // 000000007474: BEBC0080
	v_and_b32_e32 v32, 15, v0                                  // 000000007478: 2640008F
	v_add_u32_e64 v32, v32, s60                                // 00000000747C: D1340020 00007920
	v_mul_i32_i24_e64 v33, s46, 16                             // 000000007484: D1060021 0001202E
	v_add_u32_e32 v32, v32, v33                                // 00000000748C: 68404320
	v_cmp_lt_u32_e64 s[60:61], v32, s83                        // 000000007490: D0C9003C 0000A720
	s_nop 1                                                    // 000000007498: BF800001
	v_cndmask_b32_e64 v52, v226, v52, s[60:61]                 // 00000000749C: D1000034 00F269E2
	v_cndmask_b32_e64 v64, v226, v64, s[60:61]                 // 0000000074A4: D1000040 00F281E2
	v_cndmask_b32_e64 v53, v226, v53, s[60:61]                 // 0000000074AC: D1000035 00F26BE2
	v_cndmask_b32_e64 v65, v226, v65, s[60:61]                 // 0000000074B4: D1000041 00F283E2
	v_cndmask_b32_e64 v54, v226, v54, s[60:61]                 // 0000000074BC: D1000036 00F26DE2
	v_cndmask_b32_e64 v66, v226, v66, s[60:61]                 // 0000000074C4: D1000042 00F285E2
	v_cndmask_b32_e64 v55, v226, v55, s[60:61]                 // 0000000074CC: D1000037 00F26FE2
	v_cndmask_b32_e64 v67, v226, v67, s[60:61]                 // 0000000074D4: D1000043 00F287E2
	s_branch label_0D6E                                        // 0000000074DC: BF82001B

00000000000074e0 <label_0D53>:
	s_mov_b32 s60, 64                                          // 0000000074E0: BEBC00C0
	v_and_b32_e32 v32, 15, v0                                  // 0000000074E4: 2640008F
	v_add_u32_e64 v32, v32, s60                                // 0000000074E8: D1340020 00007920
	v_mul_i32_i24_e64 v33, s46, 16                             // 0000000074F0: D1060021 0001202E
	v_add_u32_e32 v32, v32, v33                                // 0000000074F8: 68404320
	v_cmp_lt_u32_e64 s[60:61], v32, s83                        // 0000000074FC: D0C9003C 0000A720
	s_nop 1                                                    // 000000007504: BF800001
	v_cndmask_b32_e64 v56, v226, v56, s[60:61]                 // 000000007508: D1000038 00F271E2
	v_cndmask_b32_e64 v68, v226, v68, s[60:61]                 // 000000007510: D1000044 00F289E2
	v_cndmask_b32_e64 v57, v226, v57, s[60:61]                 // 000000007518: D1000039 00F273E2
	v_cndmask_b32_e64 v69, v226, v69, s[60:61]                 // 000000007520: D1000045 00F28BE2
	v_cndmask_b32_e64 v58, v226, v58, s[60:61]                 // 000000007528: D100003A 00F275E2
	v_cndmask_b32_e64 v70, v226, v70, s[60:61]                 // 000000007530: D1000046 00F28DE2
	v_cndmask_b32_e64 v59, v226, v59, s[60:61]                 // 000000007538: D100003B 00F277E2
	v_cndmask_b32_e64 v71, v226, v71, s[60:61]                 // 000000007540: D1000047 00F28FE2
	s_branch label_0D93                                        // 000000007548: BF820025

000000000000754c <label_0D6E>:
	v_mov_b32_e32 v56, v226                                    // 00000000754C: 7E7003E2
	v_mov_b32_e32 v68, v226                                    // 000000007550: 7E8803E2
	v_mov_b32_e32 v57, v226                                    // 000000007554: 7E7203E2
	v_mov_b32_e32 v69, v226                                    // 000000007558: 7E8A03E2
	v_mov_b32_e32 v58, v226                                    // 00000000755C: 7E7403E2
	v_mov_b32_e32 v70, v226                                    // 000000007560: 7E8C03E2
	v_mov_b32_e32 v59, v226                                    // 000000007564: 7E7603E2
	v_mov_b32_e32 v71, v226                                    // 000000007568: 7E8E03E2
	s_branch label_0D93                                        // 00000000756C: BF82001C

0000000000007570 <label_0D77>:
	s_mov_b32 s60, 0x80                                        // 000000007570: BEBC00FF 00000080
	v_and_b32_e32 v32, 15, v0                                  // 000000007578: 2640008F
	v_add_u32_e64 v32, v32, s60                                // 00000000757C: D1340020 00007920
	v_mul_i32_i24_e64 v33, s46, 16                             // 000000007584: D1060021 0001202E
	v_add_u32_e32 v32, v32, v33                                // 00000000758C: 68404320
	v_cmp_lt_u32_e64 s[60:61], v32, s83                        // 000000007590: D0C9003C 0000A720
	s_nop 1                                                    // 000000007598: BF800001
	v_cndmask_b32_e64 v60, v226, v60, s[60:61]                 // 00000000759C: D100003C 00F279E2
	v_cndmask_b32_e64 v72, v226, v72, s[60:61]                 // 0000000075A4: D1000048 00F291E2
	v_cndmask_b32_e64 v61, v226, v61, s[60:61]                 // 0000000075AC: D100003D 00F27BE2
	v_cndmask_b32_e64 v73, v226, v73, s[60:61]                 // 0000000075B4: D1000049 00F293E2
	v_cndmask_b32_e64 v62, v226, v62, s[60:61]                 // 0000000075BC: D100003E 00F27DE2
	v_cndmask_b32_e64 v74, v226, v74, s[60:61]                 // 0000000075C4: D100004A 00F295E2
	v_cndmask_b32_e64 v63, v226, v63, s[60:61]                 // 0000000075CC: D100003F 00F27FE2
	v_cndmask_b32_e64 v75, v226, v75, s[60:61]                 // 0000000075D4: D100004B 00F297E2
	s_branch label_0D9C                                        // 0000000075DC: BF820009

00000000000075e0 <label_0D93>:
	v_mov_b32_e32 v60, v226                                    // 0000000075E0: 7E7803E2
	v_mov_b32_e32 v72, v226                                    // 0000000075E4: 7E9003E2
	v_mov_b32_e32 v61, v226                                    // 0000000075E8: 7E7A03E2
	v_mov_b32_e32 v73, v226                                    // 0000000075EC: 7E9203E2
	v_mov_b32_e32 v62, v226                                    // 0000000075F0: 7E7C03E2
	v_mov_b32_e32 v74, v226                                    // 0000000075F4: 7E9403E2
	v_mov_b32_e32 v63, v226                                    // 0000000075F8: 7E7E03E2
	v_mov_b32_e32 v75, v226                                    // 0000000075FC: 7E9603E2
	s_branch label_0D9C                                        // 000000007600: BF820000

0000000000007604 <label_0D9C>:
	s_waitcnt lgkmcnt(8)                                       // 000000007604: BF8CC87F
	s_barrier                                                  // 000000007608: BF8A0000
	v_mfma_f32_16x16x16_f16 v[76:79], v[108:109], a[72:73], 0  // 00000000760C: D3CD004C 1202916C
	v_fma_f32 v52, v52, s57, -v140                             // 000000007614: D1CB0034 86307334
	v_fma_f32 v53, v53, s57, -v141                             // 00000000761C: D1CB0035 86347335
	v_fma_f32 v54, v54, s57, -v142                             // 000000007624: D1CB0036 86387336
	v_fma_f32 v55, v55, s57, -v143                             // 00000000762C: D1CB0037 863C7337
	v_fma_f32 v56, v56, s57, -v140                             // 000000007634: D1CB0038 86307338
	v_fma_f32 v57, v57, s57, -v141                             // 00000000763C: D1CB0039 86347339
	v_mfma_f32_16x16x16_f16 v[76:79], v[110:111], a[74:75], v[76:79]// 000000007644: D3CD004C 1532956E
	ds_read_b128 a[96:99], v14 offset:4352                     // 00000000764C: DBFE1100 6000000E
	ds_read_b128 a[100:103], v14 offset:4864                   // 000000007654: DBFE1300 6400000E
	v_mfma_f32_16x16x16_f16 v[76:79], v[112:113], a[76:77], v[76:79]// 00000000765C: D3CD004C 15329970
	v_fma_f32 v58, v58, s57, -v142                             // 000000007664: D1CB003A 8638733A
	v_fma_f32 v59, v59, s57, -v143                             // 00000000766C: D1CB003B 863C733B
	v_fma_f32 v60, v60, s57, -v140                             // 000000007674: D1CB003C 8630733C
	v_fma_f32 v61, v61, s57, -v141                             // 00000000767C: D1CB003D 8634733D
	v_fma_f32 v62, v62, s57, -v142                             // 000000007684: D1CB003E 8638733E
	v_fma_f32 v63, v63, s57, -v143                             // 00000000768C: D1CB003F 863C733F
	v_mfma_f32_16x16x16_f16 v[76:79], v[114:115], a[78:79], v[76:79]// 000000007694: D3CD004C 15329D72
	v_fma_f32 v64, v64, s57, -v144                             // 00000000769C: D1CB0040 86407340
	v_fma_f32 v65, v65, s57, -v145                             // 0000000076A4: D1CB0041 86447341
	v_fma_f32 v66, v66, s57, -v146                             // 0000000076AC: D1CB0042 86487342
	v_fma_f32 v67, v67, s57, -v147                             // 0000000076B4: D1CB0043 864C7343
	v_fma_f32 v68, v68, s57, -v144                             // 0000000076BC: D1CB0044 86407344
	v_fma_f32 v69, v69, s57, -v145                             // 0000000076C4: D1CB0045 86447345
	v_mfma_f32_16x16x16_f16 v[80:83], v[108:109], a[80:81], 0  // 0000000076CC: D3CD0050 1202A16C
	v_fma_f32 v70, v70, s57, -v146                             // 0000000076D4: D1CB0046 86487346
	v_fma_f32 v71, v71, s57, -v147                             // 0000000076DC: D1CB0047 864C7347
	v_fma_f32 v72, v72, s57, -v144                             // 0000000076E4: D1CB0048 86407348
	v_fma_f32 v73, v73, s57, -v145                             // 0000000076EC: D1CB0049 86447349
	v_fma_f32 v74, v74, s57, -v146                             // 0000000076F4: D1CB004A 8648734A
	v_fma_f32 v75, v75, s57, -v147                             // 0000000076FC: D1CB004B 864C734B
	v_mfma_f32_16x16x16_f16 v[80:83], v[110:111], a[82:83], v[80:83]// 000000007704: D3CD0050 1542A56E
	ds_read_b128 a[104:107], v14 offset:6528                   // 00000000770C: DBFE1980 6800000E
	ds_read_b128 a[108:111], v14 offset:7040                   // 000000007714: DBFE1B80 6C00000E
	v_mfma_f32_16x16x16_f16 v[80:83], v[112:113], a[84:85], v[80:83]// 00000000771C: D3CD0050 1542A970
	v_exp_f32_e32 v52, v52                                     // 000000007724: 7E684134
	v_exp_f32_e32 v53, v53                                     // 000000007728: 7E6A4135
	v_mfma_f32_16x16x16_f16 v[80:83], v[114:115], a[86:87], v[80:83]// 00000000772C: D3CD0050 1542AD72
	v_exp_f32_e32 v54, v54                                     // 000000007734: 7E6C4136
	v_exp_f32_e32 v55, v55                                     // 000000007738: 7E6E4137
	v_mfma_f32_16x16x16_f16 v[84:87], v[108:109], a[88:89], 0  // 00000000773C: D3CD0054 1202B16C
	v_exp_f32_e32 v56, v56                                     // 000000007744: 7E704138
	v_exp_f32_e32 v57, v57                                     // 000000007748: 7E724139
	v_mfma_f32_16x16x16_f16 v[84:87], v[110:111], a[90:91], v[84:87]// 00000000774C: D3CD0054 1552B56E
	ds_read_b64 v[156:157], v21 offset:31232                   // 000000007754: D8EC7A00 9C000015
	ds_read_b64 v[158:159], v21 offset:33280                   // 00000000775C: D8EC8200 9E000015
	v_mfma_f32_16x16x16_f16 v[84:87], v[112:113], a[92:93], v[84:87]// 000000007764: D3CD0054 1552B970
	v_exp_f32_e32 v58, v58                                     // 00000000776C: 7E74413A
	v_exp_f32_e32 v59, v59                                     // 000000007770: 7E76413B
	v_mfma_f32_16x16x16_f16 v[84:87], v[114:115], a[94:95], v[84:87]// 000000007774: D3CD0054 1552BD72
	ds_read_b64 v[160:161], v21 offset:35328                   // 00000000777C: D8EC8A00 A0000015
	ds_read_b64 v[162:163], v21 offset:37376                   // 000000007784: D8EC9200 A2000015
	v_mfma_f32_16x16x16_f16 v[88:91], v[116:117], a[72:73], 0  // 00000000778C: D3CD0058 12029174
	v_exp_f32_e32 v60, v60                                     // 000000007794: 7E78413C
	v_exp_f32_e32 v61, v61                                     // 000000007798: 7E7A413D
	v_mfma_f32_16x16x16_f16 v[88:91], v[118:119], a[74:75], v[88:91]// 00000000779C: D3CD0058 15629576
	v_exp_f32_e32 v62, v62                                     // 0000000077A4: 7E7C413E
	v_exp_f32_e32 v63, v63                                     // 0000000077A8: 7E7E413F
	v_mfma_f32_16x16x16_f16 v[88:91], v[120:121], a[76:77], v[88:91]// 0000000077AC: D3CD0058 15629978
	v_exp_f32_e32 v64, v64                                     // 0000000077B4: 7E804140
	v_exp_f32_e32 v65, v65                                     // 0000000077B8: 7E824141
	v_mfma_f32_16x16x16_f16 v[88:91], v[122:123], a[78:79], v[88:91]// 0000000077BC: D3CD0058 15629D7A
	v_exp_f32_e32 v66, v66                                     // 0000000077C4: 7E844142
	v_exp_f32_e32 v67, v67                                     // 0000000077C8: 7E864143
	v_mfma_f32_16x16x16_f16 v[92:95], v[116:117], a[80:81], 0  // 0000000077CC: D3CD005C 1202A174
	v_exp_f32_e32 v68, v68                                     // 0000000077D4: 7E884144
	v_exp_f32_e32 v69, v69                                     // 0000000077D8: 7E8A4145
	v_mfma_f32_16x16x16_f16 v[92:95], v[118:119], a[82:83], v[92:95]// 0000000077DC: D3CD005C 1572A576
	v_exp_f32_e32 v70, v70                                     // 0000000077E4: 7E8C4146
	v_exp_f32_e32 v71, v71                                     // 0000000077E8: 7E8E4147
	v_mfma_f32_16x16x16_f16 v[92:95], v[120:121], a[84:85], v[92:95]// 0000000077EC: D3CD005C 1572A978
	v_exp_f32_e32 v72, v72                                     // 0000000077F4: 7E904148
	v_exp_f32_e32 v73, v73                                     // 0000000077F8: 7E924149
	v_mfma_f32_16x16x16_f16 v[92:95], v[122:123], a[86:87], v[92:95]// 0000000077FC: D3CD005C 1572AD7A
	v_exp_f32_e32 v74, v74                                     // 000000007804: 7E94414A
	v_exp_f32_e32 v75, v75                                     // 000000007808: 7E96414B
	v_mfma_f32_16x16x16_f16 v[96:99], v[116:117], a[88:89], 0  // 00000000780C: D3CD0060 1202B174
	v_cvt_pkrtz_f16_f32 v164, v52, v53                         // 000000007814: D29600A4 00026B34
	v_cvt_pkrtz_f16_f32 v165, v54, v55                         // 00000000781C: D29600A5 00026F36
	v_cvt_pkrtz_f16_f32 v166, v56, v57                         // 000000007824: D29600A6 00027338
	v_cvt_pkrtz_f16_f32 v167, v58, v59                         // 00000000782C: D29600A7 0002773A
	v_cvt_pkrtz_f16_f32 v168, v60, v61                         // 000000007834: D29600A8 00027B3C
	v_cvt_pkrtz_f16_f32 v169, v62, v63                         // 00000000783C: D29600A9 00027F3E
	v_mfma_f32_16x16x16_f16 v[96:99], v[118:119], a[90:91], v[96:99]// 000000007844: D3CD0060 1582B576
	v_cvt_pkrtz_f16_f32 v170, v64, v65                         // 00000000784C: D29600AA 00028340
	v_cvt_pkrtz_f16_f32 v171, v66, v67                         // 000000007854: D29600AB 00028742
	v_cvt_pkrtz_f16_f32 v172, v68, v69                         // 00000000785C: D29600AC 00028B44
	v_cvt_pkrtz_f16_f32 v173, v70, v71                         // 000000007864: D29600AD 00028F46
	v_cvt_pkrtz_f16_f32 v174, v72, v73                         // 00000000786C: D29600AE 00029348
	v_cvt_pkrtz_f16_f32 v175, v74, v75                         // 000000007874: D29600AF 0002974A
	v_mfma_f32_16x16x16_f16 v[96:99], v[120:121], a[92:93], v[96:99]// 00000000787C: D3CD0060 1582B978
	v_add_u32_e32 v6, s66, v6                                  // 000000007884: 680C0C42
	v_add_u32_e32 v7, s66, v7                                  // 000000007888: 680E0E42
	v_add_u32_e32 v8, s66, v8                                  // 00000000788C: 68101042
	v_add_u32_e32 v9, s66, v9                                  // 000000007890: 68121242
	v_mfma_f32_16x16x16_f16 v[96:99], v[122:123], a[94:95], v[96:99]// 000000007894: D3CD0060 1582BD7A
	s_waitcnt lgkmcnt(0)                                       // 00000000789C: BF8CC07F
	s_barrier                                                  // 0000000078A0: BF8A0000
	v_mfma_f32_16x16x16_f16 v[178:181], v[124:125], v[164:165], v[178:181]// 0000000078A4: D3CD00B2 06CB497C
	v_subrev_f32_dpp v76, v176, v76 quad_perm:[0,0,0,0] row_mask:0xf bank_mask:0xf// 0000000078AC: 069898FA FF0000B0
	v_subrev_f32_dpp v77, v176, v77 quad_perm:[1,1,1,1] row_mask:0xf bank_mask:0xf// 0000000078B4: 069A9AFA FF0055B0
	v_subrev_f32_dpp v78, v176, v78 quad_perm:[2,2,2,2] row_mask:0xf bank_mask:0xf// 0000000078BC: 069C9CFA FF00AAB0
	v_subrev_f32_dpp v79, v176, v79 quad_perm:[3,3,3,3] row_mask:0xf bank_mask:0xf// 0000000078C4: 069E9EFA FF00FFB0
	v_subrev_f32_dpp v80, v176, v80 quad_perm:[0,0,0,0] row_mask:0xf bank_mask:0xf// 0000000078CC: 06A0A0FA FF0000B0
	v_subrev_f32_dpp v81, v176, v81 quad_perm:[1,1,1,1] row_mask:0xf bank_mask:0xf// 0000000078D4: 06A2A2FA FF0055B0
	v_mfma_f32_16x16x16_f16 v[182:185], v[126:127], v[164:165], v[182:185]// 0000000078DC: D3CD00B6 06DB497E
	v_subrev_f32_dpp v82, v176, v82 quad_perm:[2,2,2,2] row_mask:0xf bank_mask:0xf// 0000000078E4: 06A4A4FA FF00AAB0
	v_subrev_f32_dpp v83, v176, v83 quad_perm:[3,3,3,3] row_mask:0xf bank_mask:0xf// 0000000078EC: 06A6A6FA FF00FFB0
	v_subrev_f32_dpp v84, v176, v84 quad_perm:[0,0,0,0] row_mask:0xf bank_mask:0xf// 0000000078F4: 06A8A8FA FF0000B0
	v_subrev_f32_dpp v85, v176, v85 quad_perm:[1,1,1,1] row_mask:0xf bank_mask:0xf// 0000000078FC: 06AAAAFA FF0055B0
	v_subrev_f32_dpp v86, v176, v86 quad_perm:[2,2,2,2] row_mask:0xf bank_mask:0xf// 000000007904: 06ACACFA FF00AAB0
	v_subrev_f32_dpp v87, v176, v87 quad_perm:[3,3,3,3] row_mask:0xf bank_mask:0xf// 00000000790C: 06AEAEFA FF00FFB0
	v_mfma_f32_16x16x16_f16 v[186:189], v[128:129], v[164:165], v[186:189]// 000000007914: D3CD00BA 06EB4980
	v_mul_f32_e32 v76, v52, v76                                // 00000000791C: 0A989934
	v_mul_f32_e32 v77, v53, v77                                // 000000007920: 0A9A9B35
	v_mul_f32_e32 v78, v54, v78                                // 000000007924: 0A9C9D36
	v_mul_f32_e32 v79, v55, v79                                // 000000007928: 0A9E9F37
	v_mul_f32_e32 v80, v56, v80                                // 00000000792C: 0AA0A138
	v_mul_f32_e32 v81, v57, v81                                // 000000007930: 0AA2A339
	v_mfma_f32_16x16x16_f16 v[190:193], v[130:131], v[164:165], v[190:193]// 000000007934: D3CD00BE 06FB4982
	v_mul_f32_e32 v82, v58, v82                                // 00000000793C: 0AA4A53A
	v_mul_f32_e32 v83, v59, v83                                // 000000007940: 0AA6A73B
	v_mul_f32_e32 v84, v60, v84                                // 000000007944: 0AA8A93C
	v_mul_f32_e32 v85, v61, v85                                // 000000007948: 0AAAAB3D
	v_mul_f32_e32 v86, v62, v86                                // 00000000794C: 0AACAD3E
	v_mul_f32_e32 v87, v63, v87                                // 000000007950: 0AAEAF3F
	v_mfma_f32_16x16x16_f16 v[194:197], v[124:125], v[166:167], v[194:197]// 000000007954: D3CD00C2 070B4D7C
	v_cvt_pkrtz_f16_f32 v76, v76, v77                          // 00000000795C: D296004C 00029B4C
	v_cvt_pkrtz_f16_f32 v77, v78, v79                          // 000000007964: D296004D 00029F4E
	v_cvt_pkrtz_f16_f32 v78, v80, v81                          // 00000000796C: D296004E 0002A350
	v_cvt_pkrtz_f16_f32 v79, v82, v83                          // 000000007974: D296004F 0002A752
	v_cvt_pkrtz_f16_f32 v80, v84, v85                          // 00000000797C: D2960050 0002AB54
	v_cvt_pkrtz_f16_f32 v81, v86, v87                          // 000000007984: D2960051 0002AF56
	v_mfma_f32_16x16x16_f16 v[198:201], v[126:127], v[166:167], v[198:201]// 00000000798C: D3CD00C6 071B4D7E
	v_mov_b32_dpp v18, v76 quad_perm:[1,0,3,2] row_mask:0xf bank_mask:0xf// 000000007994: 7E2402FA FF00B14C
	v_perm_b32 v52, v18, v76, v17                              // 00000000799C: D1ED0034 04469912
	v_mov_b32_dpp v18, v77 quad_perm:[1,0,3,2] row_mask:0xf bank_mask:0xf// 0000000079A4: 7E2402FA FF00B14D
	v_perm_b32 v53, v18, v77, v17                              // 0000000079AC: D1ED0035 04469B12
	v_mov_b32_dpp v18, v78 quad_perm:[1,0,3,2] row_mask:0xf bank_mask:0xf// 0000000079B4: 7E2402FA FF00B14E
	v_perm_b32 v54, v18, v78, v17                              // 0000000079BC: D1ED0036 04469D12
	v_mfma_f32_16x16x16_f16 v[202:205], v[128:129], v[166:167], v[202:205]// 0000000079C4: D3CD00CA 072B4D80
	ds_write_b32 v20, v52 offset:17408                         // 0000000079CC: D81A4400 00003414
	ds_write_b32 v20, v53 offset:17952                         // 0000000079D4: D81A4620 00003514
	v_mfma_f32_16x16x16_f16 v[206:209], v[130:131], v[166:167], v[206:209]// 0000000079DC: D3CD00CE 073B4D82
	v_mov_b32_dpp v18, v79 quad_perm:[1,0,3,2] row_mask:0xf bank_mask:0xf// 0000000079E4: 7E2402FA FF00B14F
	v_perm_b32 v55, v18, v79, v17                              // 0000000079EC: D1ED0037 04469F12
	v_mov_b32_dpp v18, v80 quad_perm:[1,0,3,2] row_mask:0xf bank_mask:0xf// 0000000079F4: 7E2402FA FF00B150
	v_perm_b32 v56, v18, v80, v17                              // 0000000079FC: D1ED0038 0446A112
	v_mov_b32_dpp v18, v81 quad_perm:[1,0,3,2] row_mask:0xf bank_mask:0xf// 000000007A04: 7E2402FA FF00B151
	v_perm_b32 v57, v18, v81, v17                              // 000000007A0C: D1ED0039 0446A312
	v_mfma_f32_16x16x16_f16 v[210:213], v[124:125], v[168:169], v[210:213]// 000000007A14: D3CD00D2 074B517C
	ds_write_b32 v20, v54 offset:19712                         // 000000007A1C: D81A4D00 00003614
	ds_write_b32 v20, v55 offset:20256                         // 000000007A24: D81A4F20 00003714
	v_mfma_f32_16x16x16_f16 v[214:217], v[126:127], v[168:169], v[214:217]// 000000007A2C: D3CD00D6 075B517E
	v_subrev_f32_dpp v88, v177, v88 quad_perm:[0,0,0,0] row_mask:0xf bank_mask:0xf// 000000007A34: 06B0B0FA FF0000B1
	v_subrev_f32_dpp v89, v177, v89 quad_perm:[1,1,1,1] row_mask:0xf bank_mask:0xf// 000000007A3C: 06B2B2FA FF0055B1
	v_subrev_f32_dpp v90, v177, v90 quad_perm:[2,2,2,2] row_mask:0xf bank_mask:0xf// 000000007A44: 06B4B4FA FF00AAB1
	v_subrev_f32_dpp v91, v177, v91 quad_perm:[3,3,3,3] row_mask:0xf bank_mask:0xf// 000000007A4C: 06B6B6FA FF00FFB1
	v_subrev_f32_dpp v92, v177, v92 quad_perm:[0,0,0,0] row_mask:0xf bank_mask:0xf// 000000007A54: 06B8B8FA FF0000B1
	v_subrev_f32_dpp v93, v177, v93 quad_perm:[1,1,1,1] row_mask:0xf bank_mask:0xf// 000000007A5C: 06BABAFA FF0055B1
	v_mfma_f32_16x16x16_f16 v[218:221], v[128:129], v[168:169], v[218:221]// 000000007A64: D3CD00DA 076B5180
	ds_write_b32 v20, v56 offset:22016                         // 000000007A6C: D81A5600 00003814
	ds_write_b32 v20, v57 offset:22560                         // 000000007A74: D81A5820 00003914
	v_mfma_f32_16x16x16_f16 v[222:225], v[130:131], v[168:169], v[222:225]// 000000007A7C: D3CD00DE 077B5182
	v_subrev_f32_dpp v94, v177, v94 quad_perm:[2,2,2,2] row_mask:0xf bank_mask:0xf// 000000007A84: 06BCBCFA FF00AAB1
	v_subrev_f32_dpp v95, v177, v95 quad_perm:[3,3,3,3] row_mask:0xf bank_mask:0xf// 000000007A8C: 06BEBEFA FF00FFB1
	v_subrev_f32_dpp v96, v177, v96 quad_perm:[0,0,0,0] row_mask:0xf bank_mask:0xf// 000000007A94: 06C0C0FA FF0000B1
	v_subrev_f32_dpp v97, v177, v97 quad_perm:[1,1,1,1] row_mask:0xf bank_mask:0xf// 000000007A9C: 06C2C2FA FF0055B1
	v_subrev_f32_dpp v98, v177, v98 quad_perm:[2,2,2,2] row_mask:0xf bank_mask:0xf// 000000007AA4: 06C4C4FA FF00AAB1
	v_subrev_f32_dpp v99, v177, v99 quad_perm:[3,3,3,3] row_mask:0xf bank_mask:0xf// 000000007AAC: 06C6C6FA FF00FFB1
	v_mfma_f32_16x16x16_f16 v[178:181], v[132:133], v[170:171], v[178:181]// 000000007AB4: D3CD00B2 06CB5584
	v_mul_f32_e32 v88, v64, v88                                // 000000007ABC: 0AB0B140
	v_mul_f32_e32 v89, v65, v89                                // 000000007AC0: 0AB2B341
	v_mul_f32_e32 v90, v66, v90                                // 000000007AC4: 0AB4B542
	v_mul_f32_e32 v91, v67, v91                                // 000000007AC8: 0AB6B743
	v_mul_f32_e32 v92, v68, v92                                // 000000007ACC: 0AB8B944
	v_mul_f32_e32 v93, v69, v93                                // 000000007AD0: 0ABABB45
	v_mfma_f32_16x16x16_f16 v[182:185], v[134:135], v[170:171], v[182:185]// 000000007AD4: D3CD00B6 06DB5586
	v_mul_f32_e32 v94, v70, v94                                // 000000007ADC: 0ABCBD46
	v_mul_f32_e32 v95, v71, v95                                // 000000007AE0: 0ABEBF47
	v_mul_f32_e32 v96, v72, v96                                // 000000007AE4: 0AC0C148
	v_mul_f32_e32 v97, v73, v97                                // 000000007AE8: 0AC2C349
	v_mul_f32_e32 v98, v74, v98                                // 000000007AEC: 0AC4C54A
	v_mul_f32_e32 v99, v75, v99                                // 000000007AF0: 0AC6C74B
	v_mfma_f32_16x16x16_f16 v[186:189], v[136:137], v[170:171], v[186:189]// 000000007AF4: D3CD00BA 06EB5588
	v_cvt_pkrtz_f16_f32 v82, v88, v89                          // 000000007AFC: D2960052 0002B358
	v_cvt_pkrtz_f16_f32 v83, v90, v91                          // 000000007B04: D2960053 0002B75A
	v_cvt_pkrtz_f16_f32 v84, v92, v93                          // 000000007B0C: D2960054 0002BB5C
	v_cvt_pkrtz_f16_f32 v85, v94, v95                          // 000000007B14: D2960055 0002BF5E
	v_cvt_pkrtz_f16_f32 v86, v96, v97                          // 000000007B1C: D2960056 0002C360
	v_cvt_pkrtz_f16_f32 v87, v98, v99                          // 000000007B24: D2960057 0002C762
	v_mfma_f32_16x16x16_f16 v[190:193], v[138:139], v[170:171], v[190:193]// 000000007B2C: D3CD00BE 06FB558A
	v_mov_b32_dpp v18, v82 quad_perm:[1,0,3,2] row_mask:0xf bank_mask:0xf// 000000007B34: 7E2402FA FF00B152
	v_perm_b32 v58, v18, v82, v17                              // 000000007B3C: D1ED003A 0446A512
	v_mov_b32_dpp v18, v83 quad_perm:[1,0,3,2] row_mask:0xf bank_mask:0xf// 000000007B44: 7E2402FA FF00B153
	v_perm_b32 v59, v18, v83, v17                              // 000000007B4C: D1ED003B 0446A712
	v_mov_b32_dpp v18, v84 quad_perm:[1,0,3,2] row_mask:0xf bank_mask:0xf// 000000007B54: 7E2402FA FF00B154
	v_perm_b32 v60, v18, v84, v17                              // 000000007B5C: D1ED003C 0446A912
	v_mfma_f32_16x16x16_f16 v[194:197], v[132:133], v[172:173], v[194:197]// 000000007B64: D3CD00C2 070B5984
	ds_write_b32 v20, v58 offset:24320                         // 000000007B6C: D81A5F00 00003A14
	ds_write_b32 v20, v59 offset:24864                         // 000000007B74: D81A6120 00003B14
	v_mfma_f32_16x16x16_f16 v[198:201], v[134:135], v[172:173], v[198:201]// 000000007B7C: D3CD00C6 071B5986
	v_mov_b32_dpp v18, v85 quad_perm:[1,0,3,2] row_mask:0xf bank_mask:0xf// 000000007B84: 7E2402FA FF00B155
	v_perm_b32 v61, v18, v85, v17                              // 000000007B8C: D1ED003D 0446AB12
	v_mov_b32_dpp v18, v86 quad_perm:[1,0,3,2] row_mask:0xf bank_mask:0xf// 000000007B94: 7E2402FA FF00B156
	v_perm_b32 v62, v18, v86, v17                              // 000000007B9C: D1ED003E 0446AD12
	v_mov_b32_dpp v18, v87 quad_perm:[1,0,3,2] row_mask:0xf bank_mask:0xf// 000000007BA4: 7E2402FA FF00B157
	v_perm_b32 v63, v18, v87, v17                              // 000000007BAC: D1ED003F 0446AF12
	v_mfma_f32_16x16x16_f16 v[202:205], v[136:137], v[172:173], v[202:205]// 000000007BB4: D3CD00CA 072B5988
	ds_write_b32 v20, v60 offset:26624                         // 000000007BBC: D81A6800 00003C14
	ds_write_b32 v20, v61 offset:27168                         // 000000007BC4: D81A6A20 00003D14
	ds_write_b32 v20, v62 offset:28928                         // 000000007BCC: D81A7100 00003E14
	ds_write_b32 v20, v63 offset:29472                         // 000000007BD4: D81A7320 00003F14
	v_mfma_f32_16x16x16_f16 v[206:209], v[138:139], v[172:173], v[206:209]// 000000007BDC: D3CD00CE 073B598A
	v_mfma_f32_16x16x16_f16 v[210:213], v[132:133], v[174:175], v[210:213]// 000000007BE4: D3CD00D2 074B5D84
	ds_write_b32 v15, v100 offset:4352                         // 000000007BEC: D81A1100 0000640F
	ds_write_b32 v15, v101 offset:5408                         // 000000007BF4: D81A1520 0000650F
	v_mfma_f32_16x16x16_f16 v[214:217], v[134:135], v[174:175], v[214:217]// 000000007BFC: D3CD00D6 075B5D86
	v_mfma_f32_16x16x16_f16 v[218:221], v[136:137], v[174:175], v[218:221]// 000000007C04: D3CD00DA 076B5D88
	ds_write_b32 v15, v102 offset:6528                         // 000000007C0C: D81A1980 0000660F
	ds_write_b32 v15, v103 offset:7584                         // 000000007C14: D81A1DA0 0000670F
	v_mfma_f32_16x16x16_f16 v[222:225], v[138:139], v[174:175], v[222:225]// 000000007C1C: D3CD00DE 077B5D8A
	s_nop 0                                                    // 000000007C24: BF800000
	s_nop 0                                                    // 000000007C28: BF800000
	s_nop 0                                                    // 000000007C2C: BF800000
	s_barrier                                                  // 000000007C30: BF8A0000
	v_mfma_f32_16x16x16_f16 a[112:115], a[96:97], v[76:77], a[112:115]// 000000007C34: D3CD8070 0DC29960
	ds_read_b32 v140, v23 offset:39936                         // 000000007C3C: D86C9C00 8C000017
	ds_read_b32 v144, v23 offset:40000                         // 000000007C44: D86C9C40 90000017
	ds_read_b32 v176, v23 offset:40192                         // 000000007C4C: D86C9D00 B0000017
	ds_read_b32 v177, v23 offset:40256                         // 000000007C54: D86C9D40 B1000017
	v_mfma_f32_16x16x16_f16 a[116:119], a[98:99], v[76:77], a[116:119]// 000000007C5C: D3CD8074 0DD29962
	buffer_atomic_add_f32 v156, v6, s[32:35], 0 idxen          // 000000007C64: E1342000 80089C06
	v_mfma_f32_16x16x16_f16 a[120:123], a[100:101], v[76:77], a[120:123]// 000000007C6C: D3CD8078 0DE29964
	s_waitcnt lgkmcnt(8)                                       // 000000007C74: BF8CC87F
	s_barrier                                                  // 000000007C78: BF8A0000
	v_mfma_f32_16x16x16_f16 a[124:127], a[102:103], v[76:77], a[124:127]// 000000007C7C: D3CD807C 0DF29966
	v_mfma_f32_16x16x16_f16 a[128:131], a[96:97], v[78:79], a[128:131]// 000000007C84: D3CD8080 0E029D60
	ds_read_b128 v[52:55], v19 offset:17408                    // 000000007C8C: D9FE4400 34000013
	v_mfma_f32_16x16x16_f16 a[132:135], a[98:99], v[78:79], a[132:135]// 000000007C94: D3CD8084 0E129D62
	v_mfma_f32_16x16x16_f16 a[136:139], a[100:101], v[78:79], a[136:139]// 000000007C9C: D3CD8088 0E229D64
	ds_read_b128 v[56:59], v19 offset:18560                    // 000000007CA4: D9FE4880 38000013
	v_mfma_f32_16x16x16_f16 a[140:143], a[102:103], v[78:79], a[140:143]// 000000007CAC: D3CD808C 0E329D66
	buffer_atomic_add_f32 v157, v7, s[32:35], 0 idxen          // 000000007CB4: E1342000 80089D07
	v_mfma_f32_16x16x16_f16 a[144:147], a[96:97], v[80:81], a[144:147]// 000000007CBC: D3CD8090 0E42A160
	ds_read_b128 v[60:63], v19 offset:19712                    // 000000007CC4: D9FE4D00 3C000013
	v_mfma_f32_16x16x16_f16 a[148:151], a[98:99], v[80:81], a[148:151]// 000000007CCC: D3CD8094 0E52A162
	v_mfma_f32_16x16x16_f16 a[152:155], a[100:101], v[80:81], a[152:155]// 000000007CD4: D3CD8098 0E62A164
	ds_read_b128 v[64:67], v19 offset:20864                    // 000000007CDC: D9FE5180 40000013
	v_mfma_f32_16x16x16_f16 a[156:159], a[102:103], v[80:81], a[156:159]// 000000007CE4: D3CD809C 0E72A166
	v_mfma_f32_16x16x16_f16 a[112:115], a[104:105], v[82:83], a[112:115]// 000000007CEC: D3CD8070 0DC2A568
	ds_read_b128 v[68:71], v19 offset:22016                    // 000000007CF4: D9FE5600 44000013
	v_mfma_f32_16x16x16_f16 a[116:119], a[106:107], v[82:83], a[116:119]// 000000007CFC: D3CD8074 0DD2A56A
	buffer_atomic_add_f32 v158, v6, s[32:35], 0 idxen offset:128// 000000007D04: E1342080 80089E06
	v_mfma_f32_16x16x16_f16 a[120:123], a[108:109], v[82:83], a[120:123]// 000000007D0C: D3CD8078 0DE2A56C
	ds_read_b128 v[72:75], v19 offset:23168                    // 000000007D14: D9FE5A80 48000013
	v_mfma_f32_16x16x16_f16 a[124:127], a[110:111], v[82:83], a[124:127]// 000000007D1C: D3CD807C 0DF2A56E
	v_mfma_f32_16x16x16_f16 a[128:131], a[104:105], v[84:85], a[128:131]// 000000007D24: D3CD8080 0E02A968
	ds_write_b32 v15, v104 offset:13056                        // 000000007D2C: D81A3300 0000680F
	v_mfma_f32_16x16x16_f16 a[132:135], a[106:107], v[84:85], a[132:135]// 000000007D34: D3CD8084 0E12A96A
	v_mfma_f32_16x16x16_f16 a[136:139], a[108:109], v[84:85], a[136:139]// 000000007D3C: D3CD8088 0E22A96C
	ds_write_b32 v15, v105 offset:14112                        // 000000007D44: D81A3720 0000690F
	v_mfma_f32_16x16x16_f16 a[140:143], a[110:111], v[84:85], a[140:143]// 000000007D4C: D3CD808C 0E32A96E
	buffer_atomic_add_f32 v159, v7, s[32:35], 0 idxen offset:128// 000000007D54: E1342080 80089F07
	v_mfma_f32_16x16x16_f16 a[144:147], a[104:105], v[86:87], a[144:147]// 000000007D5C: D3CD8090 0E42AD68
	ds_write_b32 v15, v106 offset:15232                        // 000000007D64: D81A3B80 00006A0F
	v_mfma_f32_16x16x16_f16 a[148:151], a[106:107], v[86:87], a[148:151]// 000000007D6C: D3CD8094 0E52AD6A
	v_mfma_f32_16x16x16_f16 a[152:155], a[108:109], v[86:87], a[152:155]// 000000007D74: D3CD8098 0E62AD6C
	ds_write_b32 v15, v107 offset:16288                        // 000000007D7C: D81A3FA0 00006B0F
	v_mfma_f32_16x16x16_f16 a[156:159], a[110:111], v[86:87], a[156:159]// 000000007D84: D3CD809C 0E72AD6E
	s_waitcnt vmcnt(8) lgkmcnt(4)                              // 000000007D8C: BF8C0478
	s_barrier                                                  // 000000007D90: BF8A0000
	v_mfma_f32_16x16x16_f16 v[148:151], v[52:53], a[24:25], 0  // 000000007D94: D3CD0094 12023134
	ds_read_b128 a[96:99], v12                                 // 000000007D9C: DBFE0000 6000000C
	buffer_load_dword v40, v1, s[8:11], 0 idxen                // 000000007DA4: E0502000 80022801
	v_mfma_f32_16x16x16_f16 v[148:151], v[54:55], a[28:29], v[148:151]// 000000007DAC: D3CD0094 16523936
	v_mul_f32_e32 v140, s48, v140                              // 000000007DB4: 0B191830
	v_mul_f32_e32 v144, s48, v144                              // 000000007DB8: 0B212030
	s_nop 0                                                    // 000000007DBC: BF800000
	v_mfma_f32_16x16x16_f16 v[148:151], v[56:57], a[32:33], v[148:151]// 000000007DC0: D3CD0094 16524138
	ds_read_b128 a[100:103], v12 offset:512                    // 000000007DC8: DBFE0200 6400000C
	buffer_load_dword v41, v2, s[8:11], 0 idxen                // 000000007DD0: E0502000 80022902
	v_mfma_f32_16x16x16_f16 v[148:151], v[58:59], a[36:37], v[148:151]// 000000007DD8: D3CD0094 1652493A
	v_mfma_f32_16x16x16_f16 v[148:151], v[60:61], a[40:41], v[148:151]// 000000007DE0: D3CD0094 1652513C
	ds_read_b128 a[104:107], v12 offset:2176                   // 000000007DE8: DBFE0880 6800000C
	buffer_load_dword v42, v3, s[8:11], 0 idxen                // 000000007DF0: E0502000 80022A03
	v_mfma_f32_16x16x16_f16 v[148:151], v[62:63], a[44:45], v[148:151]// 000000007DF8: D3CD0094 1652593E
	v_perm_b32 v100, v37, v36, s63                             // 000000007E00: D1ED0064 00FE4925
	v_perm_b32 v101, v37, v36, s64                             // 000000007E08: D1ED0065 01024925
	v_mfma_f32_16x16x16_f16 v[148:151], v[64:65], a[48:49], v[148:151]// 000000007E10: D3CD0094 16526140
	ds_read_b128 a[108:111], v12 offset:2688                   // 000000007E18: DBFE0A80 6C00000C
	buffer_load_dword v43, v4, s[8:11], 0 idxen                // 000000007E20: E0502000 80022B04
	v_mfma_f32_16x16x16_f16 v[148:151], v[66:67], a[52:53], v[148:151]// 000000007E28: D3CD0094 16526942
	v_perm_b32 v102, v39, v38, s63                             // 000000007E30: D1ED0066 00FE4D27
	v_perm_b32 v103, v39, v38, s64                             // 000000007E38: D1ED0067 01024D27
	v_mfma_f32_16x16x16_f16 v[148:151], v[68:69], a[56:57], v[148:151]// 000000007E40: D3CD0094 16527144
	ds_read_b128 v[108:111], v12 offset:8704                   // 000000007E48: D9FE2200 6C00000C
	buffer_load_dword v48, v227, s[20:23], 0 idxen             // 000000007E50: E0502000 800530E3
	v_mfma_f32_16x16x16_f16 v[148:151], v[70:71], a[60:61], v[148:151]// 000000007E58: D3CD0094 16527946
	v_perm_b32 v104, v45, v44, s63                             // 000000007E60: D1ED0068 00FE592D
	v_perm_b32 v105, v45, v44, s64                             // 000000007E68: D1ED0069 0102592D
	v_mfma_f32_16x16x16_f16 v[148:151], v[72:73], a[64:65], v[148:151]// 000000007E70: D3CD0094 16528148
	ds_read_b128 v[112:115], v12 offset:9216                   // 000000007E78: D9FE2400 7000000C
	buffer_load_dword v49, v228, s[20:23], 0 idxen             // 000000007E80: E0502000 800531E4
	v_mfma_f32_16x16x16_f16 v[148:151], v[74:75], a[68:69], v[148:151]// 000000007E88: D3CD0094 1652894A
	v_perm_b32 v106, v47, v46, s63                             // 000000007E90: D1ED006A 00FE5D2F
	v_perm_b32 v107, v47, v46, s64                             // 000000007E98: D1ED006B 01025D2F
	v_mfma_f32_16x16x16_f16 v[152:155], v[52:53], a[26:27], 0  // 000000007EA0: D3CD0098 12023534
	ds_read_b128 v[116:119], v12 offset:10880                  // 000000007EA8: D9FE2A80 7400000C
	buffer_load_dword v50, v229, s[20:23], 0 idxen             // 000000007EB0: E0502000 800532E5
	v_mfma_f32_16x16x16_f16 v[152:155], v[54:55], a[30:31], v[152:155]// 000000007EB8: D3CD0098 16623D36
	v_mov_b32_dpp v143, v140 quad_perm:[3,3,3,3] row_mask:0xf bank_mask:0xf// 000000007EC0: 7F1E02FA FF00FF8C
	v_mov_b32_dpp v142, v140 quad_perm:[2,2,2,2] row_mask:0xf bank_mask:0xf// 000000007EC8: 7F1C02FA FF00AA8C
	v_mov_b32_dpp v141, v140 quad_perm:[1,1,1,1] row_mask:0xf bank_mask:0xf// 000000007ED0: 7F1A02FA FF00558C
	v_mov_b32_dpp v140, v140 quad_perm:[0,0,0,0] row_mask:0xf bank_mask:0xf// 000000007ED8: 7F1802FA FF00008C
	v_mfma_f32_16x16x16_f16 v[152:155], v[56:57], a[34:35], v[152:155]// 000000007EE0: D3CD0098 16624538
	ds_read_b128 v[120:123], v12 offset:11392                  // 000000007EE8: D9FE2C80 7800000C
	buffer_load_dword v51, v230, s[20:23], 0 idxen             // 000000007EF0: E0502000 800533E6
	v_mfma_f32_16x16x16_f16 v[152:155], v[58:59], a[38:39], v[152:155]// 000000007EF8: D3CD0098 16624D3A
	v_mov_b32_dpp v147, v144 quad_perm:[3,3,3,3] row_mask:0xf bank_mask:0xf// 000000007F00: 7F2602FA FF00FF90
	v_mov_b32_dpp v146, v144 quad_perm:[2,2,2,2] row_mask:0xf bank_mask:0xf// 000000007F08: 7F2402FA FF00AA90
	v_mov_b32_dpp v145, v144 quad_perm:[1,1,1,1] row_mask:0xf bank_mask:0xf// 000000007F10: 7F2202FA FF005590
	v_mov_b32_dpp v144, v144 quad_perm:[0,0,0,0] row_mask:0xf bank_mask:0xf// 000000007F18: 7F2002FA FF000090
	s_add_u32 s60, 0x80, s59                                   // 000000007F20: 803C3BFF 00000080
	v_mfma_f32_16x16x16_f16 v[152:155], v[60:61], a[42:43], v[152:155]// 000000007F28: D3CD0098 1662553C
	buffer_load_dword v11, s[24:27], 0 idxen lds               // 000000007F30: E0512000 8006000B
	v_mfma_f32_16x16x16_f16 v[152:155], v[62:63], a[46:47], v[152:155]// 000000007F38: D3CD0098 16625D3E
	s_cmp_lt_u32 s60, s58                                      // 000000007F40: BF0A3A3C
	s_cselect_b32 s68, s68, 0                                  // 000000007F44: 85448044
	s_cselect_b32 s81, s81, 0                                  // 000000007F48: 85518051
	s_cselect_b32 s69, s69, 0                                  // 000000007F4C: 85458045
	v_mfma_f32_16x16x16_f16 v[152:155], v[64:65], a[50:51], v[152:155]// 000000007F50: D3CD0098 16626540
	v_add_u32_e32 v1, s68, v1                                  // 000000007F58: 68020244
	v_add_u32_e32 v2, s68, v2                                  // 000000007F5C: 68040444
	v_add_u32_e32 v3, s68, v3                                  // 000000007F60: 68060644
	v_add_u32_e32 v4, s68, v4                                  // 000000007F64: 68080844
	v_mfma_f32_16x16x16_f16 v[152:155], v[66:67], a[54:55], v[152:155]// 000000007F68: D3CD0098 16626D42
	v_add_u32_e32 v227, s81, v227                              // 000000007F70: 69C7C651
	v_add_u32_e32 v228, s81, v228                              // 000000007F74: 69C9C851
	v_add_u32_e32 v229, s81, v229                              // 000000007F78: 69CBCA51
	v_add_u32_e32 v230, s81, v230                              // 000000007F7C: 69CDCC51
	v_mfma_f32_16x16x16_f16 v[152:155], v[68:69], a[58:59], v[152:155]// 000000007F80: D3CD0098 16627544
	s_mov_b32 m0, s74                                          // 000000007F88: BEFC004A
	v_add_u32_e32 v11, s69, v11                                // 000000007F8C: 68161645
	v_mfma_f32_16x16x16_f16 v[152:155], v[70:71], a[62:63], v[152:155]// 000000007F90: D3CD0098 16627D46
	s_cmp_ge_u32 s59, 32                                       // 000000007F98: BF09A03B
	s_cselect_b32 s66, s67, s66                                // 000000007F9C: 85424243
	v_mfma_f32_16x16x16_f16 v[152:155], v[72:73], a[66:67], v[152:155]// 000000007FA0: D3CD0098 16628548
	s_addk_i32 s59, 0x20                                       // 000000007FA8: B73B0020
	s_nop 0                                                    // 000000007FAC: BF800000
	s_cmp_lt_i32 s59, s58                                      // 000000007FB0: BF043A3B
	v_mfma_f32_16x16x16_f16 v[152:155], v[74:75], a[70:71], v[152:155]// 000000007FB4: D3CD0098 16628D4A
	s_cbranch_scc0 label_0CBE                                  // 000000007FBC: BF84FCBC
	s_waitcnt lgkmcnt(4)                                       // 000000007FC0: BF8CC47F
	s_barrier                                                  // 000000007FC4: BF8A0000
	v_mfma_f32_16x16x16_f16 v[52:55], a[96:97], a[0:1], 0      // 000000007FC8: D3CD0034 1A020160
	v_mul_f32_e32 v148, s47, v148                              // 000000007FD0: 0B29282F
	v_mul_f32_e32 v149, s47, v149                              // 000000007FD4: 0B2B2A2F
	v_mfma_f32_16x16x16_f16 v[52:55], a[98:99], a[2:3], v[52:55]// 000000007FD8: D3CD0034 1CD20562
	ds_write_b32 v13, v44 offset:8704                          // 000000007FE0: D81A2200 00002C0D
	ds_write_b32 v13, v45 offset:9760                          // 000000007FE8: D81A2620 00002D0D
	v_mfma_f32_16x16x16_f16 v[52:55], a[100:101], a[4:5], v[52:55]// 000000007FF0: D3CD0034 1CD20964
	v_mul_f32_e32 v150, s47, v150                              // 000000007FF8: 0B2D2C2F
	v_mul_f32_e32 v151, s47, v151                              // 000000007FFC: 0B2F2E2F
	v_mfma_f32_16x16x16_f16 v[52:55], a[102:103], a[6:7], v[52:55]// 000000008000: D3CD0034 1CD20D66
	ds_write_b32 v13, v46 offset:10880                         // 000000008008: D81A2A80 00002E0D
	ds_write_b32 v13, v47 offset:11936                         // 000000008010: D81A2EA0 00002F0D
	v_mfma_f32_16x16x16_f16 v[56:59], a[96:97], a[8:9], 0      // 000000008018: D3CD0038 1A021160
	v_mul_f32_e32 v152, s47, v152                              // 000000008020: 0B31302F
	v_mul_f32_e32 v153, s47, v153                              // 000000008024: 0B33322F
	v_mfma_f32_16x16x16_f16 v[56:59], a[98:99], a[10:11], v[56:59]// 000000008028: D3CD0038 1CE21562
	ds_write_b64 v22, v[148:149] offset:31232                  // 000000008030: D89A7A00 00009416
	v_mfma_f32_16x16x16_f16 v[56:59], a[100:101], a[12:13], v[56:59]// 000000008038: D3CD0038 1CE21964
	v_mul_f32_e32 v154, s47, v154                              // 000000008040: 0B35342F
	v_mul_f32_e32 v155, s47, v155                              // 000000008044: 0B37362F
	v_mfma_f32_16x16x16_f16 v[56:59], a[102:103], a[14:15], v[56:59]// 000000008048: D3CD0038 1CE21D66
	ds_write_b64 v22, v[150:151] offset:31744                  // 000000008050: D89A7C00 00009616
	v_mfma_f32_16x16x16_f16 v[60:63], a[96:97], a[16:17], 0    // 000000008058: D3CD003C 1A022160
	buffer_atomic_add_f32 v160, v8, s[32:35], 0 idxen          // 000000008060: E1342000 8008A008
	v_mfma_f32_16x16x16_f16 v[60:63], a[98:99], a[18:19], v[60:63]// 000000008068: D3CD003C 1CF22562
	ds_write_b64 v22, v[152:153] offset:32256                  // 000000008070: D89A7E00 00009816
	v_mfma_f32_16x16x16_f16 v[60:63], a[100:101], a[20:21], v[60:63]// 000000008078: D3CD003C 1CF22964
	v_mfma_f32_16x16x16_f16 v[60:63], a[102:103], a[22:23], v[60:63]// 000000008080: D3CD003C 1CF22D66
	ds_write_b64 v22, v[154:155] offset:32768                  // 000000008088: D89A8000 00009A16
	v_mfma_f32_16x16x16_f16 v[64:67], a[104:105], a[0:1], 0    // 000000008090: D3CD0040 1A020168
	buffer_atomic_add_f32 v161, v9, s[32:35], 0 idxen          // 000000008098: E1342000 8008A109
	v_mfma_f32_16x16x16_f16 v[64:67], a[106:107], a[2:3], v[64:67]// 0000000080A0: D3CD0040 1D02056A
	ds_read_b128 v[124:127], v14 offset:13056                  // 0000000080A8: D9FE3300 7C00000E
	ds_write_b32 v13, v36                                      // 0000000080B0: D81A0000 0000240D
	v_mfma_f32_16x16x16_f16 v[64:67], a[108:109], a[4:5], v[64:67]// 0000000080B8: D3CD0040 1D02096C
	v_mfma_f32_16x16x16_f16 v[64:67], a[110:111], a[6:7], v[64:67]// 0000000080C0: D3CD0040 1D020D6E
	v_mfma_f32_16x16x16_f16 v[68:71], a[104:105], a[8:9], 0    // 0000000080C8: D3CD0044 1A021168
	ds_read_b128 v[128:131], v14 offset:13568                  // 0000000080D0: D9FE3500 8000000E
	ds_write_b32 v13, v37 offset:1056                          // 0000000080D8: D81A0420 0000250D
	v_mfma_f32_16x16x16_f16 v[68:71], a[106:107], a[10:11], v[68:71]// 0000000080E0: D3CD0044 1D12156A
	buffer_atomic_add_f32 v162, v8, s[32:35], 0 idxen offset:128// 0000000080E8: E1342080 8008A208
	v_mfma_f32_16x16x16_f16 v[68:71], a[108:109], a[12:13], v[68:71]// 0000000080F0: D3CD0044 1D12196C
	v_mfma_f32_16x16x16_f16 v[68:71], a[110:111], a[14:15], v[68:71]// 0000000080F8: D3CD0044 1D121D6E
	ds_read_b128 v[132:135], v14 offset:15232                  // 000000008100: D9FE3B80 8400000E
	ds_write_b32 v13, v38 offset:2176                          // 000000008108: D81A0880 0000260D
	v_mfma_f32_16x16x16_f16 v[72:75], a[104:105], a[16:17], 0  // 000000008110: D3CD0048 1A022168
	v_mfma_f32_16x16x16_f16 v[72:75], a[106:107], a[18:19], v[72:75]// 000000008118: D3CD0048 1D22256A
	buffer_atomic_add_f32 v163, v9, s[32:35], 0 idxen offset:128// 000000008120: E1342080 8008A309
	v_mfma_f32_16x16x16_f16 v[72:75], a[108:109], a[20:21], v[72:75]// 000000008128: D3CD0048 1D22296C
	ds_read_b128 v[136:139], v14 offset:15744                  // 000000008130: D9FE3D80 8800000E
	ds_write_b32 v13, v39 offset:3232                          // 000000008138: D81A0CA0 0000270D
	v_mfma_f32_16x16x16_f16 v[72:75], a[110:111], a[22:23], v[72:75]// 000000008140: D3CD0048 1D222D6E
	s_cmp_lt_i32 s83, 0xc0                                     // 000000008148: BF04FF53 000000C0
	s_cbranch_scc0 label_10E6                                  // 000000008150: BF84006D
	s_cmp_le_i32 s83, 64                                       // 000000008154: BF05C053
	s_cbranch_scc1 label_1079                                  // 000000008158: BF850007
	s_cmp_le_i32 s83, 0x80                                     // 00000000815C: BF05FF53 00000080
	s_cbranch_scc1 label_109D                                  // 000000008164: BF85001F
	s_cmp_lt_i32 s83, 0xc0                                     // 000000008168: BF04FF53 000000C0
	s_cbranch_scc1 label_10C1                                  // 000000008170: BF850040
	s_branch label_10E6                                        // 000000008174: BF820064

0000000000008178 <label_1079>:
	s_mov_b32 s60, 0                                           // 000000008178: BEBC0080
	v_and_b32_e32 v32, 15, v0                                  // 00000000817C: 2640008F
	v_add_u32_e64 v32, v32, s60                                // 000000008180: D1340020 00007920
	v_mul_i32_i24_e64 v33, s46, 16                             // 000000008188: D1060021 0001202E
	v_add_u32_e32 v32, v32, v33                                // 000000008190: 68404320
	v_cmp_lt_u32_e64 s[60:61], v32, s83                        // 000000008194: D0C9003C 0000A720
	s_nop 1                                                    // 00000000819C: BF800001
	v_cndmask_b32_e64 v52, v226, v52, s[60:61]                 // 0000000081A0: D1000034 00F269E2
	v_cndmask_b32_e64 v64, v226, v64, s[60:61]                 // 0000000081A8: D1000040 00F281E2
	v_cndmask_b32_e64 v53, v226, v53, s[60:61]                 // 0000000081B0: D1000035 00F26BE2
	v_cndmask_b32_e64 v65, v226, v65, s[60:61]                 // 0000000081B8: D1000041 00F283E2
	v_cndmask_b32_e64 v54, v226, v54, s[60:61]                 // 0000000081C0: D1000036 00F26DE2
	v_cndmask_b32_e64 v66, v226, v66, s[60:61]                 // 0000000081C8: D1000042 00F285E2
	v_cndmask_b32_e64 v55, v226, v55, s[60:61]                 // 0000000081D0: D1000037 00F26FE2
	v_cndmask_b32_e64 v67, v226, v67, s[60:61]                 // 0000000081D8: D1000043 00F287E2
	s_branch label_10B8                                        // 0000000081E0: BF82001B

00000000000081e4 <label_109D>:
	s_mov_b32 s60, 64                                          // 0000000081E4: BEBC00C0
	v_and_b32_e32 v32, 15, v0                                  // 0000000081E8: 2640008F
	v_add_u32_e64 v32, v32, s60                                // 0000000081EC: D1340020 00007920
	v_mul_i32_i24_e64 v33, s46, 16                             // 0000000081F4: D1060021 0001202E
	v_add_u32_e32 v32, v32, v33                                // 0000000081FC: 68404320
	v_cmp_lt_u32_e64 s[60:61], v32, s83                        // 000000008200: D0C9003C 0000A720
	s_nop 1                                                    // 000000008208: BF800001
	v_cndmask_b32_e64 v56, v226, v56, s[60:61]                 // 00000000820C: D1000038 00F271E2
	v_cndmask_b32_e64 v68, v226, v68, s[60:61]                 // 000000008214: D1000044 00F289E2
	v_cndmask_b32_e64 v57, v226, v57, s[60:61]                 // 00000000821C: D1000039 00F273E2
	v_cndmask_b32_e64 v69, v226, v69, s[60:61]                 // 000000008224: D1000045 00F28BE2
	v_cndmask_b32_e64 v58, v226, v58, s[60:61]                 // 00000000822C: D100003A 00F275E2
	v_cndmask_b32_e64 v70, v226, v70, s[60:61]                 // 000000008234: D1000046 00F28DE2
	v_cndmask_b32_e64 v59, v226, v59, s[60:61]                 // 00000000823C: D100003B 00F277E2
	v_cndmask_b32_e64 v71, v226, v71, s[60:61]                 // 000000008244: D1000047 00F28FE2
	s_branch label_10DD                                        // 00000000824C: BF820025

0000000000008250 <label_10B8>:
	v_mov_b32_e32 v56, v226                                    // 000000008250: 7E7003E2
	v_mov_b32_e32 v68, v226                                    // 000000008254: 7E8803E2
	v_mov_b32_e32 v57, v226                                    // 000000008258: 7E7203E2
	v_mov_b32_e32 v69, v226                                    // 00000000825C: 7E8A03E2
	v_mov_b32_e32 v58, v226                                    // 000000008260: 7E7403E2
	v_mov_b32_e32 v70, v226                                    // 000000008264: 7E8C03E2
	v_mov_b32_e32 v59, v226                                    // 000000008268: 7E7603E2
	v_mov_b32_e32 v71, v226                                    // 00000000826C: 7E8E03E2
	s_branch label_10DD                                        // 000000008270: BF82001C

0000000000008274 <label_10C1>:
	s_mov_b32 s60, 0x80                                        // 000000008274: BEBC00FF 00000080
	v_and_b32_e32 v32, 15, v0                                  // 00000000827C: 2640008F
	v_add_u32_e64 v32, v32, s60                                // 000000008280: D1340020 00007920
	v_mul_i32_i24_e64 v33, s46, 16                             // 000000008288: D1060021 0001202E
	v_add_u32_e32 v32, v32, v33                                // 000000008290: 68404320
	v_cmp_lt_u32_e64 s[60:61], v32, s83                        // 000000008294: D0C9003C 0000A720
	s_nop 1                                                    // 00000000829C: BF800001
	v_cndmask_b32_e64 v60, v226, v60, s[60:61]                 // 0000000082A0: D100003C 00F279E2
	v_cndmask_b32_e64 v72, v226, v72, s[60:61]                 // 0000000082A8: D1000048 00F291E2
	v_cndmask_b32_e64 v61, v226, v61, s[60:61]                 // 0000000082B0: D100003D 00F27BE2
	v_cndmask_b32_e64 v73, v226, v73, s[60:61]                 // 0000000082B8: D1000049 00F293E2
	v_cndmask_b32_e64 v62, v226, v62, s[60:61]                 // 0000000082C0: D100003E 00F27DE2
	v_cndmask_b32_e64 v74, v226, v74, s[60:61]                 // 0000000082C8: D100004A 00F295E2
	v_cndmask_b32_e64 v63, v226, v63, s[60:61]                 // 0000000082D0: D100003F 00F27FE2
	v_cndmask_b32_e64 v75, v226, v75, s[60:61]                 // 0000000082D8: D100004B 00F297E2
	s_branch label_10E6                                        // 0000000082E0: BF820009

00000000000082e4 <label_10DD>:
	v_mov_b32_e32 v60, v226                                    // 0000000082E4: 7E7803E2
	v_mov_b32_e32 v72, v226                                    // 0000000082E8: 7E9003E2
	v_mov_b32_e32 v61, v226                                    // 0000000082EC: 7E7A03E2
	v_mov_b32_e32 v73, v226                                    // 0000000082F0: 7E9203E2
	v_mov_b32_e32 v62, v226                                    // 0000000082F4: 7E7C03E2
	v_mov_b32_e32 v74, v226                                    // 0000000082F8: 7E9403E2
	v_mov_b32_e32 v63, v226                                    // 0000000082FC: 7E7E03E2
	v_mov_b32_e32 v75, v226                                    // 000000008300: 7E9603E2
	s_branch label_10E6                                        // 000000008304: BF820000

0000000000008308 <label_10E6>:
	s_waitcnt lgkmcnt(8)                                       // 000000008308: BF8CC87F
	s_barrier                                                  // 00000000830C: BF8A0000
	v_mfma_f32_16x16x16_f16 v[76:79], v[108:109], a[72:73], 0  // 000000008310: D3CD004C 1202916C
	v_fma_f32 v52, v52, s57, -v140                             // 000000008318: D1CB0034 86307334
	v_fma_f32 v53, v53, s57, -v141                             // 000000008320: D1CB0035 86347335
	v_fma_f32 v54, v54, s57, -v142                             // 000000008328: D1CB0036 86387336
	v_fma_f32 v55, v55, s57, -v143                             // 000000008330: D1CB0037 863C7337
	v_fma_f32 v56, v56, s57, -v140                             // 000000008338: D1CB0038 86307338
	v_fma_f32 v57, v57, s57, -v141                             // 000000008340: D1CB0039 86347339
	v_mfma_f32_16x16x16_f16 v[76:79], v[110:111], a[74:75], v[76:79]// 000000008348: D3CD004C 1532956E
	ds_read_b128 a[96:99], v14 offset:4352                     // 000000008350: DBFE1100 6000000E
	ds_read_b128 a[100:103], v14 offset:4864                   // 000000008358: DBFE1300 6400000E
	v_mfma_f32_16x16x16_f16 v[76:79], v[112:113], a[76:77], v[76:79]// 000000008360: D3CD004C 15329970
	v_fma_f32 v58, v58, s57, -v142                             // 000000008368: D1CB003A 8638733A
	v_fma_f32 v59, v59, s57, -v143                             // 000000008370: D1CB003B 863C733B
	v_fma_f32 v60, v60, s57, -v140                             // 000000008378: D1CB003C 8630733C
	v_fma_f32 v61, v61, s57, -v141                             // 000000008380: D1CB003D 8634733D
	v_fma_f32 v62, v62, s57, -v142                             // 000000008388: D1CB003E 8638733E
	v_fma_f32 v63, v63, s57, -v143                             // 000000008390: D1CB003F 863C733F
	v_mfma_f32_16x16x16_f16 v[76:79], v[114:115], a[78:79], v[76:79]// 000000008398: D3CD004C 15329D72
	v_fma_f32 v64, v64, s57, -v144                             // 0000000083A0: D1CB0040 86407340
	v_fma_f32 v65, v65, s57, -v145                             // 0000000083A8: D1CB0041 86447341
	v_fma_f32 v66, v66, s57, -v146                             // 0000000083B0: D1CB0042 86487342
	v_fma_f32 v67, v67, s57, -v147                             // 0000000083B8: D1CB0043 864C7343
	v_fma_f32 v68, v68, s57, -v144                             // 0000000083C0: D1CB0044 86407344
	v_fma_f32 v69, v69, s57, -v145                             // 0000000083C8: D1CB0045 86447345
	v_mfma_f32_16x16x16_f16 v[80:83], v[108:109], a[80:81], 0  // 0000000083D0: D3CD0050 1202A16C
	v_fma_f32 v70, v70, s57, -v146                             // 0000000083D8: D1CB0046 86487346
	v_fma_f32 v71, v71, s57, -v147                             // 0000000083E0: D1CB0047 864C7347
	v_fma_f32 v72, v72, s57, -v144                             // 0000000083E8: D1CB0048 86407348
	v_fma_f32 v73, v73, s57, -v145                             // 0000000083F0: D1CB0049 86447349
	v_fma_f32 v74, v74, s57, -v146                             // 0000000083F8: D1CB004A 8648734A
	v_fma_f32 v75, v75, s57, -v147                             // 000000008400: D1CB004B 864C734B
	v_mfma_f32_16x16x16_f16 v[80:83], v[110:111], a[82:83], v[80:83]// 000000008408: D3CD0050 1542A56E
	ds_read_b128 a[104:107], v14 offset:6528                   // 000000008410: DBFE1980 6800000E
	ds_read_b128 a[108:111], v14 offset:7040                   // 000000008418: DBFE1B80 6C00000E
	v_mfma_f32_16x16x16_f16 v[80:83], v[112:113], a[84:85], v[80:83]// 000000008420: D3CD0050 1542A970
	v_exp_f32_e32 v52, v52                                     // 000000008428: 7E684134
	v_exp_f32_e32 v53, v53                                     // 00000000842C: 7E6A4135
	v_mfma_f32_16x16x16_f16 v[80:83], v[114:115], a[86:87], v[80:83]// 000000008430: D3CD0050 1542AD72
	v_exp_f32_e32 v54, v54                                     // 000000008438: 7E6C4136
	v_exp_f32_e32 v55, v55                                     // 00000000843C: 7E6E4137
	v_mfma_f32_16x16x16_f16 v[84:87], v[108:109], a[88:89], 0  // 000000008440: D3CD0054 1202B16C
	v_exp_f32_e32 v56, v56                                     // 000000008448: 7E704138
	v_exp_f32_e32 v57, v57                                     // 00000000844C: 7E724139
	v_mfma_f32_16x16x16_f16 v[84:87], v[110:111], a[90:91], v[84:87]// 000000008450: D3CD0054 1552B56E
	ds_read_b64 v[156:157], v21 offset:31232                   // 000000008458: D8EC7A00 9C000015
	ds_read_b64 v[158:159], v21 offset:33280                   // 000000008460: D8EC8200 9E000015
	v_mfma_f32_16x16x16_f16 v[84:87], v[112:113], a[92:93], v[84:87]// 000000008468: D3CD0054 1552B970
	v_exp_f32_e32 v58, v58                                     // 000000008470: 7E74413A
	v_exp_f32_e32 v59, v59                                     // 000000008474: 7E76413B
	v_mfma_f32_16x16x16_f16 v[84:87], v[114:115], a[94:95], v[84:87]// 000000008478: D3CD0054 1552BD72
	ds_read_b64 v[160:161], v21 offset:35328                   // 000000008480: D8EC8A00 A0000015
	ds_read_b64 v[162:163], v21 offset:37376                   // 000000008488: D8EC9200 A2000015
	v_mfma_f32_16x16x16_f16 v[88:91], v[116:117], a[72:73], 0  // 000000008490: D3CD0058 12029174
	v_exp_f32_e32 v60, v60                                     // 000000008498: 7E78413C
	v_exp_f32_e32 v61, v61                                     // 00000000849C: 7E7A413D
	v_mfma_f32_16x16x16_f16 v[88:91], v[118:119], a[74:75], v[88:91]// 0000000084A0: D3CD0058 15629576
	v_exp_f32_e32 v62, v62                                     // 0000000084A8: 7E7C413E
	v_exp_f32_e32 v63, v63                                     // 0000000084AC: 7E7E413F
	v_mfma_f32_16x16x16_f16 v[88:91], v[120:121], a[76:77], v[88:91]// 0000000084B0: D3CD0058 15629978
	v_exp_f32_e32 v64, v64                                     // 0000000084B8: 7E804140
	v_exp_f32_e32 v65, v65                                     // 0000000084BC: 7E824141
	v_mfma_f32_16x16x16_f16 v[88:91], v[122:123], a[78:79], v[88:91]// 0000000084C0: D3CD0058 15629D7A
	v_exp_f32_e32 v66, v66                                     // 0000000084C8: 7E844142
	v_exp_f32_e32 v67, v67                                     // 0000000084CC: 7E864143
	v_mfma_f32_16x16x16_f16 v[92:95], v[116:117], a[80:81], 0  // 0000000084D0: D3CD005C 1202A174
	v_exp_f32_e32 v68, v68                                     // 0000000084D8: 7E884144
	v_exp_f32_e32 v69, v69                                     // 0000000084DC: 7E8A4145
	v_mfma_f32_16x16x16_f16 v[92:95], v[118:119], a[82:83], v[92:95]// 0000000084E0: D3CD005C 1572A576
	v_exp_f32_e32 v70, v70                                     // 0000000084E8: 7E8C4146
	v_exp_f32_e32 v71, v71                                     // 0000000084EC: 7E8E4147
	v_mfma_f32_16x16x16_f16 v[92:95], v[120:121], a[84:85], v[92:95]// 0000000084F0: D3CD005C 1572A978
	v_exp_f32_e32 v72, v72                                     // 0000000084F8: 7E904148
	v_exp_f32_e32 v73, v73                                     // 0000000084FC: 7E924149
	v_mfma_f32_16x16x16_f16 v[92:95], v[122:123], a[86:87], v[92:95]// 000000008500: D3CD005C 1572AD7A
	v_exp_f32_e32 v74, v74                                     // 000000008508: 7E94414A
	v_exp_f32_e32 v75, v75                                     // 00000000850C: 7E96414B
	v_mfma_f32_16x16x16_f16 v[96:99], v[116:117], a[88:89], 0  // 000000008510: D3CD0060 1202B174
	v_cvt_pkrtz_f16_f32 v164, v52, v53                         // 000000008518: D29600A4 00026B34
	v_cvt_pkrtz_f16_f32 v165, v54, v55                         // 000000008520: D29600A5 00026F36
	v_cvt_pkrtz_f16_f32 v166, v56, v57                         // 000000008528: D29600A6 00027338
	v_cvt_pkrtz_f16_f32 v167, v58, v59                         // 000000008530: D29600A7 0002773A
	v_cvt_pkrtz_f16_f32 v168, v60, v61                         // 000000008538: D29600A8 00027B3C
	v_cvt_pkrtz_f16_f32 v169, v62, v63                         // 000000008540: D29600A9 00027F3E
	v_mfma_f32_16x16x16_f16 v[96:99], v[118:119], a[90:91], v[96:99]// 000000008548: D3CD0060 1582B576
	v_cvt_pkrtz_f16_f32 v170, v64, v65                         // 000000008550: D29600AA 00028340
	v_cvt_pkrtz_f16_f32 v171, v66, v67                         // 000000008558: D29600AB 00028742
	v_cvt_pkrtz_f16_f32 v172, v68, v69                         // 000000008560: D29600AC 00028B44
	v_cvt_pkrtz_f16_f32 v173, v70, v71                         // 000000008568: D29600AD 00028F46
	v_cvt_pkrtz_f16_f32 v174, v72, v73                         // 000000008570: D29600AE 00029348
	v_cvt_pkrtz_f16_f32 v175, v74, v75                         // 000000008578: D29600AF 0002974A
	v_mfma_f32_16x16x16_f16 v[96:99], v[120:121], a[92:93], v[96:99]// 000000008580: D3CD0060 1582B978
	v_add_u32_e32 v6, s66, v6                                  // 000000008588: 680C0C42
	v_add_u32_e32 v7, s66, v7                                  // 00000000858C: 680E0E42
	v_add_u32_e32 v8, s66, v8                                  // 000000008590: 68101042
	v_add_u32_e32 v9, s66, v9                                  // 000000008594: 68121242
	v_mfma_f32_16x16x16_f16 v[96:99], v[122:123], a[94:95], v[96:99]// 000000008598: D3CD0060 1582BD7A
	s_waitcnt lgkmcnt(0)                                       // 0000000085A0: BF8CC07F
	s_barrier                                                  // 0000000085A4: BF8A0000
	v_mfma_f32_16x16x16_f16 v[178:181], v[124:125], v[164:165], v[178:181]// 0000000085A8: D3CD00B2 06CB497C
	v_subrev_f32_dpp v76, v176, v76 quad_perm:[0,0,0,0] row_mask:0xf bank_mask:0xf// 0000000085B0: 069898FA FF0000B0
	v_subrev_f32_dpp v77, v176, v77 quad_perm:[1,1,1,1] row_mask:0xf bank_mask:0xf// 0000000085B8: 069A9AFA FF0055B0
	v_subrev_f32_dpp v78, v176, v78 quad_perm:[2,2,2,2] row_mask:0xf bank_mask:0xf// 0000000085C0: 069C9CFA FF00AAB0
	v_subrev_f32_dpp v79, v176, v79 quad_perm:[3,3,3,3] row_mask:0xf bank_mask:0xf// 0000000085C8: 069E9EFA FF00FFB0
	v_subrev_f32_dpp v80, v176, v80 quad_perm:[0,0,0,0] row_mask:0xf bank_mask:0xf// 0000000085D0: 06A0A0FA FF0000B0
	v_subrev_f32_dpp v81, v176, v81 quad_perm:[1,1,1,1] row_mask:0xf bank_mask:0xf// 0000000085D8: 06A2A2FA FF0055B0
	v_mfma_f32_16x16x16_f16 v[182:185], v[126:127], v[164:165], v[182:185]// 0000000085E0: D3CD00B6 06DB497E
	v_subrev_f32_dpp v82, v176, v82 quad_perm:[2,2,2,2] row_mask:0xf bank_mask:0xf// 0000000085E8: 06A4A4FA FF00AAB0
	v_subrev_f32_dpp v83, v176, v83 quad_perm:[3,3,3,3] row_mask:0xf bank_mask:0xf// 0000000085F0: 06A6A6FA FF00FFB0
	v_subrev_f32_dpp v84, v176, v84 quad_perm:[0,0,0,0] row_mask:0xf bank_mask:0xf// 0000000085F8: 06A8A8FA FF0000B0
	v_subrev_f32_dpp v85, v176, v85 quad_perm:[1,1,1,1] row_mask:0xf bank_mask:0xf// 000000008600: 06AAAAFA FF0055B0
	v_subrev_f32_dpp v86, v176, v86 quad_perm:[2,2,2,2] row_mask:0xf bank_mask:0xf// 000000008608: 06ACACFA FF00AAB0
	v_subrev_f32_dpp v87, v176, v87 quad_perm:[3,3,3,3] row_mask:0xf bank_mask:0xf// 000000008610: 06AEAEFA FF00FFB0
	v_mfma_f32_16x16x16_f16 v[186:189], v[128:129], v[164:165], v[186:189]// 000000008618: D3CD00BA 06EB4980
	v_mul_f32_e32 v76, v52, v76                                // 000000008620: 0A989934
	v_mul_f32_e32 v77, v53, v77                                // 000000008624: 0A9A9B35
	v_mul_f32_e32 v78, v54, v78                                // 000000008628: 0A9C9D36
	v_mul_f32_e32 v79, v55, v79                                // 00000000862C: 0A9E9F37
	v_mul_f32_e32 v80, v56, v80                                // 000000008630: 0AA0A138
	v_mul_f32_e32 v81, v57, v81                                // 000000008634: 0AA2A339
	v_mfma_f32_16x16x16_f16 v[190:193], v[130:131], v[164:165], v[190:193]// 000000008638: D3CD00BE 06FB4982
	v_mul_f32_e32 v82, v58, v82                                // 000000008640: 0AA4A53A
	v_mul_f32_e32 v83, v59, v83                                // 000000008644: 0AA6A73B
	v_mul_f32_e32 v84, v60, v84                                // 000000008648: 0AA8A93C
	v_mul_f32_e32 v85, v61, v85                                // 00000000864C: 0AAAAB3D
	v_mul_f32_e32 v86, v62, v86                                // 000000008650: 0AACAD3E
	v_mul_f32_e32 v87, v63, v87                                // 000000008654: 0AAEAF3F
	v_mfma_f32_16x16x16_f16 v[194:197], v[124:125], v[166:167], v[194:197]// 000000008658: D3CD00C2 070B4D7C
	v_cvt_pkrtz_f16_f32 v76, v76, v77                          // 000000008660: D296004C 00029B4C
	v_cvt_pkrtz_f16_f32 v77, v78, v79                          // 000000008668: D296004D 00029F4E
	v_cvt_pkrtz_f16_f32 v78, v80, v81                          // 000000008670: D296004E 0002A350
	v_cvt_pkrtz_f16_f32 v79, v82, v83                          // 000000008678: D296004F 0002A752
	v_cvt_pkrtz_f16_f32 v80, v84, v85                          // 000000008680: D2960050 0002AB54
	v_cvt_pkrtz_f16_f32 v81, v86, v87                          // 000000008688: D2960051 0002AF56
	v_mfma_f32_16x16x16_f16 v[198:201], v[126:127], v[166:167], v[198:201]// 000000008690: D3CD00C6 071B4D7E
	v_mov_b32_dpp v18, v76 quad_perm:[1,0,3,2] row_mask:0xf bank_mask:0xf// 000000008698: 7E2402FA FF00B14C
	v_perm_b32 v52, v18, v76, v17                              // 0000000086A0: D1ED0034 04469912
	v_mov_b32_dpp v18, v77 quad_perm:[1,0,3,2] row_mask:0xf bank_mask:0xf// 0000000086A8: 7E2402FA FF00B14D
	v_perm_b32 v53, v18, v77, v17                              // 0000000086B0: D1ED0035 04469B12
	v_mov_b32_dpp v18, v78 quad_perm:[1,0,3,2] row_mask:0xf bank_mask:0xf// 0000000086B8: 7E2402FA FF00B14E
	v_perm_b32 v54, v18, v78, v17                              // 0000000086C0: D1ED0036 04469D12
	v_mfma_f32_16x16x16_f16 v[202:205], v[128:129], v[166:167], v[202:205]// 0000000086C8: D3CD00CA 072B4D80
	ds_write_b32 v20, v52 offset:17408                         // 0000000086D0: D81A4400 00003414
	ds_write_b32 v20, v53 offset:17952                         // 0000000086D8: D81A4620 00003514
	v_mfma_f32_16x16x16_f16 v[206:209], v[130:131], v[166:167], v[206:209]// 0000000086E0: D3CD00CE 073B4D82
	v_mov_b32_dpp v18, v79 quad_perm:[1,0,3,2] row_mask:0xf bank_mask:0xf// 0000000086E8: 7E2402FA FF00B14F
	v_perm_b32 v55, v18, v79, v17                              // 0000000086F0: D1ED0037 04469F12
	v_mov_b32_dpp v18, v80 quad_perm:[1,0,3,2] row_mask:0xf bank_mask:0xf// 0000000086F8: 7E2402FA FF00B150
	v_perm_b32 v56, v18, v80, v17                              // 000000008700: D1ED0038 0446A112
	v_mov_b32_dpp v18, v81 quad_perm:[1,0,3,2] row_mask:0xf bank_mask:0xf// 000000008708: 7E2402FA FF00B151
	v_perm_b32 v57, v18, v81, v17                              // 000000008710: D1ED0039 0446A312
	v_mfma_f32_16x16x16_f16 v[210:213], v[124:125], v[168:169], v[210:213]// 000000008718: D3CD00D2 074B517C
	ds_write_b32 v20, v54 offset:19712                         // 000000008720: D81A4D00 00003614
	ds_write_b32 v20, v55 offset:20256                         // 000000008728: D81A4F20 00003714
	v_mfma_f32_16x16x16_f16 v[214:217], v[126:127], v[168:169], v[214:217]// 000000008730: D3CD00D6 075B517E
	v_subrev_f32_dpp v88, v177, v88 quad_perm:[0,0,0,0] row_mask:0xf bank_mask:0xf// 000000008738: 06B0B0FA FF0000B1
	v_subrev_f32_dpp v89, v177, v89 quad_perm:[1,1,1,1] row_mask:0xf bank_mask:0xf// 000000008740: 06B2B2FA FF0055B1
	v_subrev_f32_dpp v90, v177, v90 quad_perm:[2,2,2,2] row_mask:0xf bank_mask:0xf// 000000008748: 06B4B4FA FF00AAB1
	v_subrev_f32_dpp v91, v177, v91 quad_perm:[3,3,3,3] row_mask:0xf bank_mask:0xf// 000000008750: 06B6B6FA FF00FFB1
	v_subrev_f32_dpp v92, v177, v92 quad_perm:[0,0,0,0] row_mask:0xf bank_mask:0xf// 000000008758: 06B8B8FA FF0000B1
	v_subrev_f32_dpp v93, v177, v93 quad_perm:[1,1,1,1] row_mask:0xf bank_mask:0xf// 000000008760: 06BABAFA FF0055B1
	v_mfma_f32_16x16x16_f16 v[218:221], v[128:129], v[168:169], v[218:221]// 000000008768: D3CD00DA 076B5180
	ds_write_b32 v20, v56 offset:22016                         // 000000008770: D81A5600 00003814
	ds_write_b32 v20, v57 offset:22560                         // 000000008778: D81A5820 00003914
	v_mfma_f32_16x16x16_f16 v[222:225], v[130:131], v[168:169], v[222:225]// 000000008780: D3CD00DE 077B5182
	v_subrev_f32_dpp v94, v177, v94 quad_perm:[2,2,2,2] row_mask:0xf bank_mask:0xf// 000000008788: 06BCBCFA FF00AAB1
	v_subrev_f32_dpp v95, v177, v95 quad_perm:[3,3,3,3] row_mask:0xf bank_mask:0xf// 000000008790: 06BEBEFA FF00FFB1
	v_subrev_f32_dpp v96, v177, v96 quad_perm:[0,0,0,0] row_mask:0xf bank_mask:0xf// 000000008798: 06C0C0FA FF0000B1
	v_subrev_f32_dpp v97, v177, v97 quad_perm:[1,1,1,1] row_mask:0xf bank_mask:0xf// 0000000087A0: 06C2C2FA FF0055B1
	v_subrev_f32_dpp v98, v177, v98 quad_perm:[2,2,2,2] row_mask:0xf bank_mask:0xf// 0000000087A8: 06C4C4FA FF00AAB1
	v_subrev_f32_dpp v99, v177, v99 quad_perm:[3,3,3,3] row_mask:0xf bank_mask:0xf// 0000000087B0: 06C6C6FA FF00FFB1
	v_mfma_f32_16x16x16_f16 v[178:181], v[132:133], v[170:171], v[178:181]// 0000000087B8: D3CD00B2 06CB5584
	v_mul_f32_e32 v88, v64, v88                                // 0000000087C0: 0AB0B140
	v_mul_f32_e32 v89, v65, v89                                // 0000000087C4: 0AB2B341
	v_mul_f32_e32 v90, v66, v90                                // 0000000087C8: 0AB4B542
	v_mul_f32_e32 v91, v67, v91                                // 0000000087CC: 0AB6B743
	v_mul_f32_e32 v92, v68, v92                                // 0000000087D0: 0AB8B944
	v_mul_f32_e32 v93, v69, v93                                // 0000000087D4: 0ABABB45
	v_mfma_f32_16x16x16_f16 v[182:185], v[134:135], v[170:171], v[182:185]// 0000000087D8: D3CD00B6 06DB5586
	v_mul_f32_e32 v94, v70, v94                                // 0000000087E0: 0ABCBD46
	v_mul_f32_e32 v95, v71, v95                                // 0000000087E4: 0ABEBF47
	v_mul_f32_e32 v96, v72, v96                                // 0000000087E8: 0AC0C148
	v_mul_f32_e32 v97, v73, v97                                // 0000000087EC: 0AC2C349
	v_mul_f32_e32 v98, v74, v98                                // 0000000087F0: 0AC4C54A
	v_mul_f32_e32 v99, v75, v99                                // 0000000087F4: 0AC6C74B
	v_mfma_f32_16x16x16_f16 v[186:189], v[136:137], v[170:171], v[186:189]// 0000000087F8: D3CD00BA 06EB5588
	v_cvt_pkrtz_f16_f32 v82, v88, v89                          // 000000008800: D2960052 0002B358
	v_cvt_pkrtz_f16_f32 v83, v90, v91                          // 000000008808: D2960053 0002B75A
	v_cvt_pkrtz_f16_f32 v84, v92, v93                          // 000000008810: D2960054 0002BB5C
	v_cvt_pkrtz_f16_f32 v85, v94, v95                          // 000000008818: D2960055 0002BF5E
	v_cvt_pkrtz_f16_f32 v86, v96, v97                          // 000000008820: D2960056 0002C360
	v_cvt_pkrtz_f16_f32 v87, v98, v99                          // 000000008828: D2960057 0002C762
	v_mfma_f32_16x16x16_f16 v[190:193], v[138:139], v[170:171], v[190:193]// 000000008830: D3CD00BE 06FB558A
	v_mov_b32_dpp v18, v82 quad_perm:[1,0,3,2] row_mask:0xf bank_mask:0xf// 000000008838: 7E2402FA FF00B152
	v_perm_b32 v58, v18, v82, v17                              // 000000008840: D1ED003A 0446A512
	v_mov_b32_dpp v18, v83 quad_perm:[1,0,3,2] row_mask:0xf bank_mask:0xf// 000000008848: 7E2402FA FF00B153
	v_perm_b32 v59, v18, v83, v17                              // 000000008850: D1ED003B 0446A712
	v_mov_b32_dpp v18, v84 quad_perm:[1,0,3,2] row_mask:0xf bank_mask:0xf// 000000008858: 7E2402FA FF00B154
	v_perm_b32 v60, v18, v84, v17                              // 000000008860: D1ED003C 0446A912
	v_mfma_f32_16x16x16_f16 v[194:197], v[132:133], v[172:173], v[194:197]// 000000008868: D3CD00C2 070B5984
	ds_write_b32 v20, v58 offset:24320                         // 000000008870: D81A5F00 00003A14
	ds_write_b32 v20, v59 offset:24864                         // 000000008878: D81A6120 00003B14
	v_mfma_f32_16x16x16_f16 v[198:201], v[134:135], v[172:173], v[198:201]// 000000008880: D3CD00C6 071B5986
	v_mov_b32_dpp v18, v85 quad_perm:[1,0,3,2] row_mask:0xf bank_mask:0xf// 000000008888: 7E2402FA FF00B155
	v_perm_b32 v61, v18, v85, v17                              // 000000008890: D1ED003D 0446AB12
	v_mov_b32_dpp v18, v86 quad_perm:[1,0,3,2] row_mask:0xf bank_mask:0xf// 000000008898: 7E2402FA FF00B156
	v_perm_b32 v62, v18, v86, v17                              // 0000000088A0: D1ED003E 0446AD12
	v_mov_b32_dpp v18, v87 quad_perm:[1,0,3,2] row_mask:0xf bank_mask:0xf// 0000000088A8: 7E2402FA FF00B157
	v_perm_b32 v63, v18, v87, v17                              // 0000000088B0: D1ED003F 0446AF12
	v_mfma_f32_16x16x16_f16 v[202:205], v[136:137], v[172:173], v[202:205]// 0000000088B8: D3CD00CA 072B5988
	ds_write_b32 v20, v60 offset:26624                         // 0000000088C0: D81A6800 00003C14
	ds_write_b32 v20, v61 offset:27168                         // 0000000088C8: D81A6A20 00003D14
	ds_write_b32 v20, v62 offset:28928                         // 0000000088D0: D81A7100 00003E14
	ds_write_b32 v20, v63 offset:29472                         // 0000000088D8: D81A7320 00003F14
	v_mfma_f32_16x16x16_f16 v[206:209], v[138:139], v[172:173], v[206:209]// 0000000088E0: D3CD00CE 073B598A
	v_mfma_f32_16x16x16_f16 v[210:213], v[132:133], v[174:175], v[210:213]// 0000000088E8: D3CD00D2 074B5D84
	ds_write_b32 v15, v100 offset:4352                         // 0000000088F0: D81A1100 0000640F
	ds_write_b32 v15, v101 offset:5408                         // 0000000088F8: D81A1520 0000650F
	v_mfma_f32_16x16x16_f16 v[214:217], v[134:135], v[174:175], v[214:217]// 000000008900: D3CD00D6 075B5D86
	v_mfma_f32_16x16x16_f16 v[218:221], v[136:137], v[174:175], v[218:221]// 000000008908: D3CD00DA 076B5D88
	ds_write_b32 v15, v102 offset:6528                         // 000000008910: D81A1980 0000660F
	ds_write_b32 v15, v103 offset:7584                         // 000000008918: D81A1DA0 0000670F
	v_mfma_f32_16x16x16_f16 v[222:225], v[138:139], v[174:175], v[222:225]// 000000008920: D3CD00DE 077B5D8A
	s_nop 0                                                    // 000000008928: BF800000
	s_nop 0                                                    // 00000000892C: BF800000
	s_nop 0                                                    // 000000008930: BF800000
	s_barrier                                                  // 000000008934: BF8A0000
	v_mfma_f32_16x16x16_f16 a[112:115], a[96:97], v[76:77], a[112:115]// 000000008938: D3CD8070 0DC29960
	ds_read_b32 v140, v23 offset:39424                         // 000000008940: D86C9A00 8C000017
	ds_read_b32 v144, v23 offset:39488                         // 000000008948: D86C9A40 90000017
	ds_read_b32 v176, v23 offset:39680                         // 000000008950: D86C9B00 B0000017
	ds_read_b32 v177, v23 offset:39744                         // 000000008958: D86C9B40 B1000017
	v_mfma_f32_16x16x16_f16 a[116:119], a[98:99], v[76:77], a[116:119]// 000000008960: D3CD8074 0DD29962
	buffer_atomic_add_f32 v156, v6, s[32:35], 0 idxen          // 000000008968: E1342000 80089C06
	v_mfma_f32_16x16x16_f16 a[120:123], a[100:101], v[76:77], a[120:123]// 000000008970: D3CD8078 0DE29964
	s_waitcnt lgkmcnt(8)                                       // 000000008978: BF8CC87F
	s_barrier                                                  // 00000000897C: BF8A0000
	v_mfma_f32_16x16x16_f16 a[124:127], a[102:103], v[76:77], a[124:127]// 000000008980: D3CD807C 0DF29966
	v_mfma_f32_16x16x16_f16 a[128:131], a[96:97], v[78:79], a[128:131]// 000000008988: D3CD8080 0E029D60
	ds_read_b128 v[52:55], v19 offset:17408                    // 000000008990: D9FE4400 34000013
	v_mfma_f32_16x16x16_f16 a[132:135], a[98:99], v[78:79], a[132:135]// 000000008998: D3CD8084 0E129D62
	v_mfma_f32_16x16x16_f16 a[136:139], a[100:101], v[78:79], a[136:139]// 0000000089A0: D3CD8088 0E229D64
	ds_read_b128 v[56:59], v19 offset:18560                    // 0000000089A8: D9FE4880 38000013
	v_mfma_f32_16x16x16_f16 a[140:143], a[102:103], v[78:79], a[140:143]// 0000000089B0: D3CD808C 0E329D66
	buffer_atomic_add_f32 v157, v7, s[32:35], 0 idxen          // 0000000089B8: E1342000 80089D07
	v_mfma_f32_16x16x16_f16 a[144:147], a[96:97], v[80:81], a[144:147]// 0000000089C0: D3CD8090 0E42A160
	ds_read_b128 v[60:63], v19 offset:19712                    // 0000000089C8: D9FE4D00 3C000013
	v_mfma_f32_16x16x16_f16 a[148:151], a[98:99], v[80:81], a[148:151]// 0000000089D0: D3CD8094 0E52A162
	v_mfma_f32_16x16x16_f16 a[152:155], a[100:101], v[80:81], a[152:155]// 0000000089D8: D3CD8098 0E62A164
	ds_read_b128 v[64:67], v19 offset:20864                    // 0000000089E0: D9FE5180 40000013
	v_mfma_f32_16x16x16_f16 a[156:159], a[102:103], v[80:81], a[156:159]// 0000000089E8: D3CD809C 0E72A166
	v_mfma_f32_16x16x16_f16 a[112:115], a[104:105], v[82:83], a[112:115]// 0000000089F0: D3CD8070 0DC2A568
	ds_read_b128 v[68:71], v19 offset:22016                    // 0000000089F8: D9FE5600 44000013
	v_mfma_f32_16x16x16_f16 a[116:119], a[106:107], v[82:83], a[116:119]// 000000008A00: D3CD8074 0DD2A56A
	buffer_atomic_add_f32 v158, v6, s[32:35], 0 idxen offset:128// 000000008A08: E1342080 80089E06
	v_mfma_f32_16x16x16_f16 a[120:123], a[108:109], v[82:83], a[120:123]// 000000008A10: D3CD8078 0DE2A56C
	ds_read_b128 v[72:75], v19 offset:23168                    // 000000008A18: D9FE5A80 48000013
	v_mfma_f32_16x16x16_f16 a[124:127], a[110:111], v[82:83], a[124:127]// 000000008A20: D3CD807C 0DF2A56E
	v_mfma_f32_16x16x16_f16 a[128:131], a[104:105], v[84:85], a[128:131]// 000000008A28: D3CD8080 0E02A968
	ds_write_b32 v15, v104 offset:13056                        // 000000008A30: D81A3300 0000680F
	v_mfma_f32_16x16x16_f16 a[132:135], a[106:107], v[84:85], a[132:135]// 000000008A38: D3CD8084 0E12A96A
	v_mfma_f32_16x16x16_f16 a[136:139], a[108:109], v[84:85], a[136:139]// 000000008A40: D3CD8088 0E22A96C
	ds_write_b32 v15, v105 offset:14112                        // 000000008A48: D81A3720 0000690F
	v_mfma_f32_16x16x16_f16 a[140:143], a[110:111], v[84:85], a[140:143]// 000000008A50: D3CD808C 0E32A96E
	buffer_atomic_add_f32 v159, v7, s[32:35], 0 idxen offset:128// 000000008A58: E1342080 80089F07
	v_mfma_f32_16x16x16_f16 a[144:147], a[104:105], v[86:87], a[144:147]// 000000008A60: D3CD8090 0E42AD68
	ds_write_b32 v15, v106 offset:15232                        // 000000008A68: D81A3B80 00006A0F
	v_mfma_f32_16x16x16_f16 a[148:151], a[106:107], v[86:87], a[148:151]// 000000008A70: D3CD8094 0E52AD6A
	v_mfma_f32_16x16x16_f16 a[152:155], a[108:109], v[86:87], a[152:155]// 000000008A78: D3CD8098 0E62AD6C
	ds_write_b32 v15, v107 offset:16288                        // 000000008A80: D81A3FA0 00006B0F
	v_mfma_f32_16x16x16_f16 a[156:159], a[110:111], v[86:87], a[156:159]// 000000008A88: D3CD809C 0E72AD6E
	s_waitcnt vmcnt(8) lgkmcnt(4)                              // 000000008A90: BF8C0478
	s_barrier                                                  // 000000008A94: BF8A0000
	v_mfma_f32_16x16x16_f16 v[148:151], v[52:53], a[24:25], 0  // 000000008A98: D3CD0094 12023134
	ds_read_b128 a[96:99], v12                                 // 000000008AA0: DBFE0000 6000000C
	buffer_load_dword v36, v1, s[8:11], 0 idxen                // 000000008AA8: E0502000 80022401
	v_mfma_f32_16x16x16_f16 v[148:151], v[54:55], a[28:29], v[148:151]// 000000008AB0: D3CD0094 16523936
	v_mul_f32_e32 v140, s48, v140                              // 000000008AB8: 0B191830
	v_mul_f32_e32 v144, s48, v144                              // 000000008ABC: 0B212030
	s_nop 0                                                    // 000000008AC0: BF800000
	v_mfma_f32_16x16x16_f16 v[148:151], v[56:57], a[32:33], v[148:151]// 000000008AC4: D3CD0094 16524138
	ds_read_b128 a[100:103], v12 offset:512                    // 000000008ACC: DBFE0200 6400000C
	buffer_load_dword v37, v2, s[8:11], 0 idxen                // 000000008AD4: E0502000 80022502
	v_mfma_f32_16x16x16_f16 v[148:151], v[58:59], a[36:37], v[148:151]// 000000008ADC: D3CD0094 1652493A
	v_mfma_f32_16x16x16_f16 v[148:151], v[60:61], a[40:41], v[148:151]// 000000008AE4: D3CD0094 1652513C
	ds_read_b128 a[104:107], v12 offset:2176                   // 000000008AEC: DBFE0880 6800000C
	buffer_load_dword v38, v3, s[8:11], 0 idxen                // 000000008AF4: E0502000 80022603
	v_mfma_f32_16x16x16_f16 v[148:151], v[62:63], a[44:45], v[148:151]// 000000008AFC: D3CD0094 1652593E
	v_perm_b32 v100, v41, v40, s63                             // 000000008B04: D1ED0064 00FE5129
	v_perm_b32 v101, v41, v40, s64                             // 000000008B0C: D1ED0065 01025129
	v_mfma_f32_16x16x16_f16 v[148:151], v[64:65], a[48:49], v[148:151]// 000000008B14: D3CD0094 16526140
	ds_read_b128 a[108:111], v12 offset:2688                   // 000000008B1C: DBFE0A80 6C00000C
	buffer_load_dword v39, v4, s[8:11], 0 idxen                // 000000008B24: E0502000 80022704
	v_mfma_f32_16x16x16_f16 v[148:151], v[66:67], a[52:53], v[148:151]// 000000008B2C: D3CD0094 16526942
	v_perm_b32 v102, v43, v42, s63                             // 000000008B34: D1ED0066 00FE552B
	v_perm_b32 v103, v43, v42, s64                             // 000000008B3C: D1ED0067 0102552B
	v_mfma_f32_16x16x16_f16 v[148:151], v[68:69], a[56:57], v[148:151]// 000000008B44: D3CD0094 16527144
	ds_read_b128 v[108:111], v12 offset:8704                   // 000000008B4C: D9FE2200 6C00000C
	buffer_load_dword v44, v227, s[20:23], 0 idxen             // 000000008B54: E0502000 80052CE3
	v_mfma_f32_16x16x16_f16 v[148:151], v[70:71], a[60:61], v[148:151]// 000000008B5C: D3CD0094 16527946
	v_perm_b32 v104, v49, v48, s63                             // 000000008B64: D1ED0068 00FE6131
	v_perm_b32 v105, v49, v48, s64                             // 000000008B6C: D1ED0069 01026131
	v_mfma_f32_16x16x16_f16 v[148:151], v[72:73], a[64:65], v[148:151]// 000000008B74: D3CD0094 16528148
	ds_read_b128 v[112:115], v12 offset:9216                   // 000000008B7C: D9FE2400 7000000C
	buffer_load_dword v45, v228, s[20:23], 0 idxen             // 000000008B84: E0502000 80052DE4
	v_mfma_f32_16x16x16_f16 v[148:151], v[74:75], a[68:69], v[148:151]// 000000008B8C: D3CD0094 1652894A
	v_perm_b32 v106, v51, v50, s63                             // 000000008B94: D1ED006A 00FE6533
	v_perm_b32 v107, v51, v50, s64                             // 000000008B9C: D1ED006B 01026533
	v_mfma_f32_16x16x16_f16 v[152:155], v[52:53], a[26:27], 0  // 000000008BA4: D3CD0098 12023534
	ds_read_b128 v[116:119], v12 offset:10880                  // 000000008BAC: D9FE2A80 7400000C
	buffer_load_dword v46, v229, s[20:23], 0 idxen             // 000000008BB4: E0502000 80052EE5
	v_mfma_f32_16x16x16_f16 v[152:155], v[54:55], a[30:31], v[152:155]// 000000008BBC: D3CD0098 16623D36
	v_mov_b32_dpp v143, v140 quad_perm:[3,3,3,3] row_mask:0xf bank_mask:0xf// 000000008BC4: 7F1E02FA FF00FF8C
	v_mov_b32_dpp v142, v140 quad_perm:[2,2,2,2] row_mask:0xf bank_mask:0xf// 000000008BCC: 7F1C02FA FF00AA8C
	v_mov_b32_dpp v141, v140 quad_perm:[1,1,1,1] row_mask:0xf bank_mask:0xf// 000000008BD4: 7F1A02FA FF00558C
	v_mov_b32_dpp v140, v140 quad_perm:[0,0,0,0] row_mask:0xf bank_mask:0xf// 000000008BDC: 7F1802FA FF00008C
	v_mfma_f32_16x16x16_f16 v[152:155], v[56:57], a[34:35], v[152:155]// 000000008BE4: D3CD0098 16624538
	ds_read_b128 v[120:123], v12 offset:11392                  // 000000008BEC: D9FE2C80 7800000C
	buffer_load_dword v47, v230, s[20:23], 0 idxen             // 000000008BF4: E0502000 80052FE6
	v_mfma_f32_16x16x16_f16 v[152:155], v[58:59], a[38:39], v[152:155]// 000000008BFC: D3CD0098 16624D3A
	v_mov_b32_dpp v147, v144 quad_perm:[3,3,3,3] row_mask:0xf bank_mask:0xf// 000000008C04: 7F2602FA FF00FF90
	v_mov_b32_dpp v146, v144 quad_perm:[2,2,2,2] row_mask:0xf bank_mask:0xf// 000000008C0C: 7F2402FA FF00AA90
	v_mov_b32_dpp v145, v144 quad_perm:[1,1,1,1] row_mask:0xf bank_mask:0xf// 000000008C14: 7F2202FA FF005590
	v_mov_b32_dpp v144, v144 quad_perm:[0,0,0,0] row_mask:0xf bank_mask:0xf// 000000008C1C: 7F2002FA FF000090
	s_add_u32 s60, 0x80, s59                                   // 000000008C24: 803C3BFF 00000080
	v_mfma_f32_16x16x16_f16 v[152:155], v[60:61], a[42:43], v[152:155]// 000000008C2C: D3CD0098 1662553C
	buffer_load_dword v11, s[24:27], 0 idxen lds               // 000000008C34: E0512000 8006000B
	v_mfma_f32_16x16x16_f16 v[152:155], v[62:63], a[46:47], v[152:155]// 000000008C3C: D3CD0098 16625D3E
	s_cmp_lt_u32 s60, s58                                      // 000000008C44: BF0A3A3C
	s_cselect_b32 s68, s68, 0                                  // 000000008C48: 85448044
	s_cselect_b32 s81, s81, 0                                  // 000000008C4C: 85518051
	s_cselect_b32 s69, s69, 0                                  // 000000008C50: 85458045
	v_mfma_f32_16x16x16_f16 v[152:155], v[64:65], a[50:51], v[152:155]// 000000008C54: D3CD0098 16626540
	v_add_u32_e32 v1, s68, v1                                  // 000000008C5C: 68020244
	v_add_u32_e32 v2, s68, v2                                  // 000000008C60: 68040444
	v_add_u32_e32 v3, s68, v3                                  // 000000008C64: 68060644
	v_add_u32_e32 v4, s68, v4                                  // 000000008C68: 68080844
	v_mfma_f32_16x16x16_f16 v[152:155], v[66:67], a[54:55], v[152:155]// 000000008C6C: D3CD0098 16626D42
	v_add_u32_e32 v227, s81, v227                              // 000000008C74: 69C7C651
	v_add_u32_e32 v228, s81, v228                              // 000000008C78: 69C9C851
	v_add_u32_e32 v229, s81, v229                              // 000000008C7C: 69CBCA51
	v_add_u32_e32 v230, s81, v230                              // 000000008C80: 69CDCC51
	v_mfma_f32_16x16x16_f16 v[152:155], v[68:69], a[58:59], v[152:155]// 000000008C84: D3CD0098 16627544
	s_mov_b32 m0, s75                                          // 000000008C8C: BEFC004B
	v_add_u32_e32 v11, s69, v11                                // 000000008C90: 68161645
	v_mfma_f32_16x16x16_f16 v[152:155], v[70:71], a[62:63], v[152:155]// 000000008C94: D3CD0098 16627D46
	s_cmp_ge_u32 s59, 32                                       // 000000008C9C: BF09A03B
	s_cselect_b32 s66, s67, s66                                // 000000008CA0: 85424243
	v_mfma_f32_16x16x16_f16 v[152:155], v[72:73], a[66:67], v[152:155]// 000000008CA4: D3CD0098 16628548
	s_addk_i32 s59, 0x20                                       // 000000008CAC: B73B0020
	s_nop 0                                                    // 000000008CB0: BF800000
	s_cmp_lt_i32 s59, s58                                      // 000000008CB4: BF043A3B
	v_mfma_f32_16x16x16_f16 v[152:155], v[74:75], a[70:71], v[152:155]// 000000008CB8: D3CD0098 16628D4A
	s_cbranch_scc0 label_0CBE                                  // 000000008CC0: BF84F97B
	s_branch label_0CC1                                        // 000000008CC4: BF82F97D

0000000000008cc8 <label_1356>:
	buffer_atomic_add_f32 v160, v8, s[32:35], 0 idxen          // 000000008CC8: E1342000 8008A008
	buffer_atomic_add_f32 v161, v9, s[32:35], 0 idxen          // 000000008CD0: E1342000 8008A109
	buffer_atomic_add_f32 v162, v8, s[32:35], 0 idxen offset:128// 000000008CD8: E1342080 8008A208
	buffer_atomic_add_f32 v163, v9, s[32:35], 0 idxen offset:128// 000000008CE0: E1342080 8008A309
	v_add_u32_e32 v6, s66, v6                                  // 000000008CE8: 680C0C42
	v_add_u32_e32 v7, s66, v7                                  // 000000008CEC: 680E0E42
	v_add_u32_e32 v8, s66, v8                                  // 000000008CF0: 68101042
	v_add_u32_e32 v9, s66, v9                                  // 000000008CF4: 68121242
	v_lshrrev_b32_e32 v32, 5, v0                               // 000000008CF8: 20400085
	v_mul_i32_i24_e32 v27, 0x44, v32                           // 000000008CFC: 0C3640FF 00000044
	v_and_b32_e32 v32, 31, v0                                  // 000000008D04: 2640009F
	v_mul_i32_i24_e32 v33, 2, v32                              // 000000008D08: 0C424082
	v_add_u32_e32 v27, v33, v27                                // 000000008D0C: 68363721
	s_mul_i32 s60, s46, 0x220                                  // 000000008D10: 923CFF2E 00000220
	v_add_u32_e32 v27, s60, v27                                // 000000008D18: 6836363C
	v_lshlrev_b32_e32 v27, 2, v27                              // 000000008D1C: 24363682
	v_mul_f32_e32 v148, s47, v148                              // 000000008D20: 0B29282F
	v_mul_f32_e32 v149, s47, v149                              // 000000008D24: 0B2B2A2F
	v_mul_f32_e32 v150, s47, v150                              // 000000008D28: 0B2D2C2F
	v_mul_f32_e32 v151, s47, v151                              // 000000008D2C: 0B2F2E2F
	v_mul_f32_e32 v152, s47, v152                              // 000000008D30: 0B31302F
	v_mul_f32_e32 v153, s47, v153                              // 000000008D34: 0B33322F
	v_mul_f32_e32 v154, s47, v154                              // 000000008D38: 0B35342F
	v_mul_f32_e32 v155, s47, v155                              // 000000008D3C: 0B37362F
	ds_write_b64 v22, v[148:149] offset:31232                  // 000000008D40: D89A7A00 00009416
	ds_write_b64 v22, v[150:151] offset:31744                  // 000000008D48: D89A7C00 00009616
	ds_write_b64 v22, v[152:153] offset:32256                  // 000000008D50: D89A7E00 00009816
	ds_write_b64 v22, v[154:155] offset:32768                  // 000000008D58: D89A8000 00009A16
	s_waitcnt lgkmcnt(0)                                       // 000000008D60: BF8CC07F
	s_barrier                                                  // 000000008D64: BF8A0000
	ds_read_b64 v[156:157], v21 offset:31232                   // 000000008D68: D8EC7A00 9C000015
	ds_read_b64 v[158:159], v21 offset:33280                   // 000000008D70: D8EC8200 9E000015
	ds_read_b64 v[160:161], v21 offset:35328                   // 000000008D78: D8EC8A00 A0000015
	ds_read_b64 v[162:163], v21 offset:37376                   // 000000008D80: D8EC9200 A2000015
	s_waitcnt lgkmcnt(0)                                       // 000000008D88: BF8CC07F
	s_barrier                                                  // 000000008D8C: BF8A0000
	buffer_atomic_add_f32 v156, v6, s[32:35], 0 idxen          // 000000008D90: E1342000 80089C06
	buffer_atomic_add_f32 v157, v7, s[32:35], 0 idxen          // 000000008D98: E1342000 80089D07
	buffer_atomic_add_f32 v158, v6, s[32:35], 0 idxen offset:128// 000000008DA0: E1342080 80089E06
	buffer_atomic_add_f32 v159, v7, s[32:35], 0 idxen offset:128// 000000008DA8: E1342080 80089F07
	buffer_atomic_add_f32 v160, v8, s[32:35], 0 idxen          // 000000008DB0: E1342000 8008A008
	buffer_atomic_add_f32 v161, v9, s[32:35], 0 idxen          // 000000008DB8: E1342000 8008A109
	buffer_atomic_add_f32 v162, v8, s[32:35], 0 idxen offset:128// 000000008DC0: E1342080 8008A208
	buffer_atomic_add_f32 v163, v9, s[32:35], 0 idxen offset:128// 000000008DC8: E1342080 8008A309
	v_lshrrev_b32_e32 v32, 3, v0                               // 000000008DD0: 20400083
	v_mul_i32_i24_e32 v26, 2, v32                              // 000000008DD4: 0C344082
	v_and_b32_e32 v32, 7, v0                                   // 000000008DD8: 26400087
	v_mul_i32_i24_e32 v33, 0x44, v32                           // 000000008DDC: 0C4240FF 00000044
	v_add_u32_e32 v26, v33, v26                                // 000000008DE4: 68343521
	s_mul_i32 s60, s46, 0x220                                  // 000000008DE8: 923CFF2E 00000220
	v_add_u32_e32 v26, s60, v26                                // 000000008DF0: 6834343C
	v_lshlrev_b32_e32 v26, 2, v26                              // 000000008DF4: 24343482
	v_accvgpr_read_b32 v32, a112                               // 000000008DF8: D3D84020 18000170
	v_accvgpr_read_b32 v33, a113                               // 000000008E00: D3D84021 18000171
	v_mul_f32_e32 v32, s47, v32                                // 000000008E08: 0A40402F
	v_mul_f32_e32 v33, s47, v33                                // 000000008E0C: 0A42422F
	v_cvt_pkrtz_f16_f32 v52, v32, v33                          // 000000008E10: D2960034 00024320
	v_accvgpr_read_b32 v32, a114                               // 000000008E18: D3D84020 18000172
	v_accvgpr_read_b32 v33, a115                               // 000000008E20: D3D84021 18000173
	v_mul_f32_e32 v32, s47, v32                                // 000000008E28: 0A40402F
	v_mul_f32_e32 v33, s47, v33                                // 000000008E2C: 0A42422F
	v_cvt_pkrtz_f16_f32 v53, v32, v33                          // 000000008E30: D2960035 00024320
	v_accvgpr_read_b32 v32, a116                               // 000000008E38: D3D84020 18000174
	v_accvgpr_read_b32 v33, a117                               // 000000008E40: D3D84021 18000175
	v_mul_f32_e32 v32, s47, v32                                // 000000008E48: 0A40402F
	v_mul_f32_e32 v33, s47, v33                                // 000000008E4C: 0A42422F
	v_cvt_pkrtz_f16_f32 v54, v32, v33                          // 000000008E50: D2960036 00024320
	v_accvgpr_read_b32 v32, a118                               // 000000008E58: D3D84020 18000176
	v_accvgpr_read_b32 v33, a119                               // 000000008E60: D3D84021 18000177
	v_mul_f32_e32 v32, s47, v32                                // 000000008E68: 0A40402F
	v_mul_f32_e32 v33, s47, v33                                // 000000008E6C: 0A42422F
	v_cvt_pkrtz_f16_f32 v55, v32, v33                          // 000000008E70: D2960037 00024320
	v_accvgpr_read_b32 v32, a120                               // 000000008E78: D3D84020 18000178
	v_accvgpr_read_b32 v33, a121                               // 000000008E80: D3D84021 18000179
	v_mul_f32_e32 v32, s47, v32                                // 000000008E88: 0A40402F
	v_mul_f32_e32 v33, s47, v33                                // 000000008E8C: 0A42422F
	v_cvt_pkrtz_f16_f32 v56, v32, v33                          // 000000008E90: D2960038 00024320
	v_accvgpr_read_b32 v32, a122                               // 000000008E98: D3D84020 1800017A
	v_accvgpr_read_b32 v33, a123                               // 000000008EA0: D3D84021 1800017B
	v_mul_f32_e32 v32, s47, v32                                // 000000008EA8: 0A40402F
	v_mul_f32_e32 v33, s47, v33                                // 000000008EAC: 0A42422F
	v_cvt_pkrtz_f16_f32 v57, v32, v33                          // 000000008EB0: D2960039 00024320
	v_accvgpr_read_b32 v32, a124                               // 000000008EB8: D3D84020 1800017C
	v_accvgpr_read_b32 v33, a125                               // 000000008EC0: D3D84021 1800017D
	v_mul_f32_e32 v32, s47, v32                                // 000000008EC8: 0A40402F
	v_mul_f32_e32 v33, s47, v33                                // 000000008ECC: 0A42422F
	v_cvt_pkrtz_f16_f32 v58, v32, v33                          // 000000008ED0: D296003A 00024320
	v_accvgpr_read_b32 v32, a126                               // 000000008ED8: D3D84020 1800017E
	v_accvgpr_read_b32 v33, a127                               // 000000008EE0: D3D84021 1800017F
	v_mul_f32_e32 v32, s47, v32                                // 000000008EE8: 0A40402F
	v_mul_f32_e32 v33, s47, v33                                // 000000008EEC: 0A42422F
	v_cvt_pkrtz_f16_f32 v59, v32, v33                          // 000000008EF0: D296003B 00024320
	ds_write_b64 v27, v[52:53]                                 // 000000008EF8: D89A0000 0000341B
	ds_write_b64 v27, v[54:55] offset:544                      // 000000008F00: D89A0220 0000361B
	ds_write_b64 v27, v[56:57] offset:1088                     // 000000008F08: D89A0440 0000381B
	ds_write_b64 v27, v[58:59] offset:1632                     // 000000008F10: D89A0660 00003A1B
	s_waitcnt lgkmcnt(0)                                       // 000000008F18: BF8CC07F
	s_barrier                                                  // 000000008F1C: BF8A0000
	ds_read_b64 v[52:53], v26                                  // 000000008F20: D8EC0000 3400001A
	ds_read_b64 v[54:55], v26 offset:128                       // 000000008F28: D8EC0080 3600001A
	ds_read_b64 v[56:57], v26 offset:64                        // 000000008F30: D8EC0040 3800001A
	ds_read_b64 v[58:59], v26 offset:192                       // 000000008F38: D8EC00C0 3A00001A
	s_waitcnt lgkmcnt(0)                                       // 000000008F40: BF8CC07F
	s_mov_b32 s70, s52                                         // 000000008F44: BEC60034
	buffer_store_dwordx4 v[52:55], v5, s[36:39], 0 idxen       // 000000008F48: E07C2000 80093405
	s_mul_i32 s60, 2, s70                                      // 000000008F50: 923C4682
	v_add_u32_e32 v5, s60, v5                                  // 000000008F54: 680A0A3C
	buffer_store_dwordx4 v[56:59], v5, s[36:39], 0 idxen       // 000000008F58: E07C2000 80093805
	s_mul_i32 s60, 2, s70                                      // 000000008F60: 923C4682
	v_add_u32_e32 v5, s60, v5                                  // 000000008F64: 680A0A3C
	s_mul_i32 s60, 12, s70                                     // 000000008F68: 923C468C
	v_add_u32_e32 v5, s60, v5                                  // 000000008F6C: 680A0A3C
	s_barrier                                                  // 000000008F70: BF8A0000
	s_cmp_ge_i32 1, s73                                        // 000000008F74: BF034981
	s_cbranch_scc1 label_14C5                                  // 000000008F78: BF8500C2
	v_accvgpr_read_b32 v32, a128                               // 000000008F7C: D3D84020 18000180
	v_accvgpr_read_b32 v33, a129                               // 000000008F84: D3D84021 18000181
	v_mul_f32_e32 v32, s47, v32                                // 000000008F8C: 0A40402F
	v_mul_f32_e32 v33, s47, v33                                // 000000008F90: 0A42422F
	v_cvt_pkrtz_f16_f32 v60, v32, v33                          // 000000008F94: D296003C 00024320
	v_accvgpr_read_b32 v32, a130                               // 000000008F9C: D3D84020 18000182
	v_accvgpr_read_b32 v33, a131                               // 000000008FA4: D3D84021 18000183
	v_mul_f32_e32 v32, s47, v32                                // 000000008FAC: 0A40402F
	v_mul_f32_e32 v33, s47, v33                                // 000000008FB0: 0A42422F
	v_cvt_pkrtz_f16_f32 v61, v32, v33                          // 000000008FB4: D296003D 00024320
	v_accvgpr_read_b32 v32, a132                               // 000000008FBC: D3D84020 18000184
	v_accvgpr_read_b32 v33, a133                               // 000000008FC4: D3D84021 18000185
	v_mul_f32_e32 v32, s47, v32                                // 000000008FCC: 0A40402F
	v_mul_f32_e32 v33, s47, v33                                // 000000008FD0: 0A42422F
	v_cvt_pkrtz_f16_f32 v62, v32, v33                          // 000000008FD4: D296003E 00024320
	v_accvgpr_read_b32 v32, a134                               // 000000008FDC: D3D84020 18000186
	v_accvgpr_read_b32 v33, a135                               // 000000008FE4: D3D84021 18000187
	v_mul_f32_e32 v32, s47, v32                                // 000000008FEC: 0A40402F
	v_mul_f32_e32 v33, s47, v33                                // 000000008FF0: 0A42422F
	v_cvt_pkrtz_f16_f32 v63, v32, v33                          // 000000008FF4: D296003F 00024320
	v_accvgpr_read_b32 v32, a136                               // 000000008FFC: D3D84020 18000188
	v_accvgpr_read_b32 v33, a137                               // 000000009004: D3D84021 18000189
	v_mul_f32_e32 v32, s47, v32                                // 00000000900C: 0A40402F
	v_mul_f32_e32 v33, s47, v33                                // 000000009010: 0A42422F
	v_cvt_pkrtz_f16_f32 v64, v32, v33                          // 000000009014: D2960040 00024320
	v_accvgpr_read_b32 v32, a138                               // 00000000901C: D3D84020 1800018A
	v_accvgpr_read_b32 v33, a139                               // 000000009024: D3D84021 1800018B
	v_mul_f32_e32 v32, s47, v32                                // 00000000902C: 0A40402F
	v_mul_f32_e32 v33, s47, v33                                // 000000009030: 0A42422F
	v_cvt_pkrtz_f16_f32 v65, v32, v33                          // 000000009034: D2960041 00024320
	v_accvgpr_read_b32 v32, a140                               // 00000000903C: D3D84020 1800018C
	v_accvgpr_read_b32 v33, a141                               // 000000009044: D3D84021 1800018D
	v_mul_f32_e32 v32, s47, v32                                // 00000000904C: 0A40402F
	v_mul_f32_e32 v33, s47, v33                                // 000000009050: 0A42422F
	v_cvt_pkrtz_f16_f32 v66, v32, v33                          // 000000009054: D2960042 00024320
	v_accvgpr_read_b32 v32, a142                               // 00000000905C: D3D84020 1800018E
	v_accvgpr_read_b32 v33, a143                               // 000000009064: D3D84021 1800018F
	v_mul_f32_e32 v32, s47, v32                                // 00000000906C: 0A40402F
	v_mul_f32_e32 v33, s47, v33                                // 000000009070: 0A42422F
	v_cvt_pkrtz_f16_f32 v67, v32, v33                          // 000000009074: D2960043 00024320
	ds_write_b64 v27, v[60:61] offset:8704                     // 00000000907C: D89A2200 00003C1B
	ds_write_b64 v27, v[62:63] offset:9248                     // 000000009084: D89A2420 00003E1B
	ds_write_b64 v27, v[64:65] offset:9792                     // 00000000908C: D89A2640 0000401B
	ds_write_b64 v27, v[66:67] offset:10336                    // 000000009094: D89A2860 0000421B
	s_waitcnt lgkmcnt(0)                                       // 00000000909C: BF8CC07F
	s_barrier                                                  // 0000000090A0: BF8A0000
	ds_read_b64 v[60:61], v26 offset:8704                      // 0000000090A4: D8EC2200 3C00001A
	ds_read_b64 v[62:63], v26 offset:8832                      // 0000000090AC: D8EC2280 3E00001A
	ds_read_b64 v[64:65], v26 offset:8768                      // 0000000090B4: D8EC2240 4000001A
	ds_read_b64 v[66:67], v26 offset:8896                      // 0000000090BC: D8EC22C0 4200001A
	s_waitcnt lgkmcnt(0)                                       // 0000000090C4: BF8CC07F
	s_mov_b32 s70, s52                                         // 0000000090C8: BEC60034
	buffer_store_dwordx4 v[60:63], v5, s[36:39], 0 idxen       // 0000000090CC: E07C2000 80093C05
	s_mul_i32 s60, 2, s70                                      // 0000000090D4: 923C4682
	v_add_u32_e32 v5, s60, v5                                  // 0000000090D8: 680A0A3C
	buffer_store_dwordx4 v[64:67], v5, s[36:39], 0 idxen       // 0000000090DC: E07C2000 80094005
	s_mul_i32 s60, 2, s70                                      // 0000000090E4: 923C4682
	v_add_u32_e32 v5, s60, v5                                  // 0000000090E8: 680A0A3C
	s_mul_i32 s60, 12, s70                                     // 0000000090EC: 923C468C
	v_add_u32_e32 v5, s60, v5                                  // 0000000090F0: 680A0A3C
	s_barrier                                                  // 0000000090F4: BF8A0000
	s_cmp_ge_i32 2, s73                                        // 0000000090F8: BF034982
	s_cbranch_scc1 label_14C5                                  // 0000000090FC: BF850061
	v_accvgpr_read_b32 v32, a144                               // 000000009100: D3D84020 18000190
	v_accvgpr_read_b32 v33, a145                               // 000000009108: D3D84021 18000191
	v_mul_f32_e32 v32, s47, v32                                // 000000009110: 0A40402F
	v_mul_f32_e32 v33, s47, v33                                // 000000009114: 0A42422F
	v_cvt_pkrtz_f16_f32 v68, v32, v33                          // 000000009118: D2960044 00024320
	v_accvgpr_read_b32 v32, a146                               // 000000009120: D3D84020 18000192
	v_accvgpr_read_b32 v33, a147                               // 000000009128: D3D84021 18000193
	v_mul_f32_e32 v32, s47, v32                                // 000000009130: 0A40402F
	v_mul_f32_e32 v33, s47, v33                                // 000000009134: 0A42422F
	v_cvt_pkrtz_f16_f32 v69, v32, v33                          // 000000009138: D2960045 00024320
	v_accvgpr_read_b32 v32, a148                               // 000000009140: D3D84020 18000194
	v_accvgpr_read_b32 v33, a149                               // 000000009148: D3D84021 18000195
	v_mul_f32_e32 v32, s47, v32                                // 000000009150: 0A40402F
	v_mul_f32_e32 v33, s47, v33                                // 000000009154: 0A42422F
	v_cvt_pkrtz_f16_f32 v70, v32, v33                          // 000000009158: D2960046 00024320
	v_accvgpr_read_b32 v32, a150                               // 000000009160: D3D84020 18000196
	v_accvgpr_read_b32 v33, a151                               // 000000009168: D3D84021 18000197
	v_mul_f32_e32 v32, s47, v32                                // 000000009170: 0A40402F
	v_mul_f32_e32 v33, s47, v33                                // 000000009174: 0A42422F
	v_cvt_pkrtz_f16_f32 v71, v32, v33                          // 000000009178: D2960047 00024320
	v_accvgpr_read_b32 v32, a152                               // 000000009180: D3D84020 18000198
	v_accvgpr_read_b32 v33, a153                               // 000000009188: D3D84021 18000199
	v_mul_f32_e32 v32, s47, v32                                // 000000009190: 0A40402F
	v_mul_f32_e32 v33, s47, v33                                // 000000009194: 0A42422F
	v_cvt_pkrtz_f16_f32 v72, v32, v33                          // 000000009198: D2960048 00024320
	v_accvgpr_read_b32 v32, a154                               // 0000000091A0: D3D84020 1800019A
	v_accvgpr_read_b32 v33, a155                               // 0000000091A8: D3D84021 1800019B
	v_mul_f32_e32 v32, s47, v32                                // 0000000091B0: 0A40402F
	v_mul_f32_e32 v33, s47, v33                                // 0000000091B4: 0A42422F
	v_cvt_pkrtz_f16_f32 v73, v32, v33                          // 0000000091B8: D2960049 00024320
	v_accvgpr_read_b32 v32, a156                               // 0000000091C0: D3D84020 1800019C
	v_accvgpr_read_b32 v33, a157                               // 0000000091C8: D3D84021 1800019D
	v_mul_f32_e32 v32, s47, v32                                // 0000000091D0: 0A40402F
	v_mul_f32_e32 v33, s47, v33                                // 0000000091D4: 0A42422F
	v_cvt_pkrtz_f16_f32 v74, v32, v33                          // 0000000091D8: D296004A 00024320
	v_accvgpr_read_b32 v32, a158                               // 0000000091E0: D3D84020 1800019E
	v_accvgpr_read_b32 v33, a159                               // 0000000091E8: D3D84021 1800019F
	v_mul_f32_e32 v32, s47, v32                                // 0000000091F0: 0A40402F
	v_mul_f32_e32 v33, s47, v33                                // 0000000091F4: 0A42422F
	v_cvt_pkrtz_f16_f32 v75, v32, v33                          // 0000000091F8: D296004B 00024320
	ds_write_b64 v27, v[68:69] offset:17408                    // 000000009200: D89A4400 0000441B
	ds_write_b64 v27, v[70:71] offset:17952                    // 000000009208: D89A4620 0000461B
	ds_write_b64 v27, v[72:73] offset:18496                    // 000000009210: D89A4840 0000481B
	ds_write_b64 v27, v[74:75] offset:19040                    // 000000009218: D89A4A60 00004A1B
	s_waitcnt lgkmcnt(0)                                       // 000000009220: BF8CC07F
	s_barrier                                                  // 000000009224: BF8A0000
	ds_read_b64 v[68:69], v26 offset:17408                     // 000000009228: D8EC4400 4400001A
	ds_read_b64 v[70:71], v26 offset:17536                     // 000000009230: D8EC4480 4600001A
	ds_read_b64 v[72:73], v26 offset:17472                     // 000000009238: D8EC4440 4800001A
	ds_read_b64 v[74:75], v26 offset:17600                     // 000000009240: D8EC44C0 4A00001A
	s_waitcnt lgkmcnt(0)                                       // 000000009248: BF8CC07F
	s_mov_b32 s70, s52                                         // 00000000924C: BEC60034
	buffer_store_dwordx4 v[68:71], v5, s[36:39], 0 idxen       // 000000009250: E07C2000 80094405
	s_mul_i32 s60, 2, s70                                      // 000000009258: 923C4682
	v_add_u32_e32 v5, s60, v5                                  // 00000000925C: 680A0A3C
	buffer_store_dwordx4 v[72:75], v5, s[36:39], 0 idxen       // 000000009260: E07C2000 80094805
	s_mul_i32 s60, 2, s70                                      // 000000009268: 923C4682
	v_add_u32_e32 v5, s60, v5                                  // 00000000926C: 680A0A3C
	s_mul_i32 s60, 12, s70                                     // 000000009270: 923C468C
	v_add_u32_e32 v5, s60, v5                                  // 000000009274: 680A0A3C
	s_barrier                                                  // 000000009278: BF8A0000
	s_cmp_ge_i32 3, s73                                        // 00000000927C: BF034983
	s_cbranch_scc1 label_14C5                                  // 000000009280: BF850000

0000000000009284 <label_14C5>:
	v_mov_b32_e32 v32, v178                                    // 000000009284: 7E4003B2
	v_mov_b32_e32 v33, v179                                    // 000000009288: 7E4203B3
	v_cvt_pkrtz_f16_f32 v178, v32, v33                         // 00000000928C: D29600B2 00024320
	v_mov_b32_e32 v32, v180                                    // 000000009294: 7E4003B4
	v_mov_b32_e32 v33, v181                                    // 000000009298: 7E4203B5
	v_cvt_pkrtz_f16_f32 v179, v32, v33                         // 00000000929C: D29600B3 00024320
	v_mov_b32_e32 v32, v182                                    // 0000000092A4: 7E4003B6
	v_mov_b32_e32 v33, v183                                    // 0000000092A8: 7E4203B7
	v_cvt_pkrtz_f16_f32 v180, v32, v33                         // 0000000092AC: D29600B4 00024320
	v_mov_b32_e32 v32, v184                                    // 0000000092B4: 7E4003B8
	v_mov_b32_e32 v33, v185                                    // 0000000092B8: 7E4203B9
	v_cvt_pkrtz_f16_f32 v181, v32, v33                         // 0000000092BC: D29600B5 00024320
	v_mov_b32_e32 v32, v186                                    // 0000000092C4: 7E4003BA
	v_mov_b32_e32 v33, v187                                    // 0000000092C8: 7E4203BB
	v_cvt_pkrtz_f16_f32 v182, v32, v33                         // 0000000092CC: D29600B6 00024320
	v_mov_b32_e32 v32, v188                                    // 0000000092D4: 7E4003BC
	v_mov_b32_e32 v33, v189                                    // 0000000092D8: 7E4203BD
	v_cvt_pkrtz_f16_f32 v183, v32, v33                         // 0000000092DC: D29600B7 00024320
	v_mov_b32_e32 v32, v190                                    // 0000000092E4: 7E4003BE
	v_mov_b32_e32 v33, v191                                    // 0000000092E8: 7E4203BF
	v_cvt_pkrtz_f16_f32 v184, v32, v33                         // 0000000092EC: D29600B8 00024320
	v_mov_b32_e32 v32, v192                                    // 0000000092F4: 7E4003C0
	v_mov_b32_e32 v33, v193                                    // 0000000092F8: 7E4203C1
	v_cvt_pkrtz_f16_f32 v185, v32, v33                         // 0000000092FC: D29600B9 00024320
	ds_write_b64 v27, v[178:179]                               // 000000009304: D89A0000 0000B21B
	ds_write_b64 v27, v[180:181] offset:544                    // 00000000930C: D89A0220 0000B41B
	ds_write_b64 v27, v[182:183] offset:1088                   // 000000009314: D89A0440 0000B61B
	ds_write_b64 v27, v[184:185] offset:1632                   // 00000000931C: D89A0660 0000B81B
	s_waitcnt lgkmcnt(0)                                       // 000000009324: BF8CC07F
	s_barrier                                                  // 000000009328: BF8A0000
	ds_read_b64 v[178:179], v26                                // 00000000932C: D8EC0000 B200001A
	ds_read_b64 v[180:181], v26 offset:128                     // 000000009334: D8EC0080 B400001A
	ds_read_b64 v[182:183], v26 offset:64                      // 00000000933C: D8EC0040 B600001A
	ds_read_b64 v[184:185], v26 offset:192                     // 000000009344: D8EC00C0 B800001A
	s_waitcnt lgkmcnt(0)                                       // 00000000934C: BF8CC07F
	s_mov_b32 s70, s53                                         // 000000009350: BEC60035
	buffer_store_dwordx4 v[178:181], v10, s[40:43], 0 idxen    // 000000009354: E07C2000 800AB20A
	s_mul_i32 s60, 2, s70                                      // 00000000935C: 923C4682
	v_add_u32_e32 v10, s60, v10                                // 000000009360: 6814143C
	buffer_store_dwordx4 v[182:185], v10, s[40:43], 0 idxen    // 000000009364: E07C2000 800AB60A
	s_mul_i32 s60, 2, s70                                      // 00000000936C: 923C4682
	v_add_u32_e32 v10, s60, v10                                // 000000009370: 6814143C
	s_mul_i32 s60, 12, s70                                     // 000000009374: 923C468C
	v_add_u32_e32 v10, s60, v10                                // 000000009378: 6814143C
	s_cmp_ge_i32 1, s73                                        // 00000000937C: BF034981
	s_cbranch_scc1 label_1585                                  // 000000009380: BF850080
	v_mov_b32_e32 v32, v194                                    // 000000009384: 7E4003C2
	v_mov_b32_e32 v33, v195                                    // 000000009388: 7E4203C3
	v_cvt_pkrtz_f16_f32 v186, v32, v33                         // 00000000938C: D29600BA 00024320
	v_mov_b32_e32 v32, v196                                    // 000000009394: 7E4003C4
	v_mov_b32_e32 v33, v197                                    // 000000009398: 7E4203C5
	v_cvt_pkrtz_f16_f32 v187, v32, v33                         // 00000000939C: D29600BB 00024320
	v_mov_b32_e32 v32, v198                                    // 0000000093A4: 7E4003C6
	v_mov_b32_e32 v33, v199                                    // 0000000093A8: 7E4203C7
	v_cvt_pkrtz_f16_f32 v188, v32, v33                         // 0000000093AC: D29600BC 00024320
	v_mov_b32_e32 v32, v200                                    // 0000000093B4: 7E4003C8
	v_mov_b32_e32 v33, v201                                    // 0000000093B8: 7E4203C9
	v_cvt_pkrtz_f16_f32 v189, v32, v33                         // 0000000093BC: D29600BD 00024320
	v_mov_b32_e32 v32, v202                                    // 0000000093C4: 7E4003CA
	v_mov_b32_e32 v33, v203                                    // 0000000093C8: 7E4203CB
	v_cvt_pkrtz_f16_f32 v190, v32, v33                         // 0000000093CC: D29600BE 00024320
	v_mov_b32_e32 v32, v204                                    // 0000000093D4: 7E4003CC
	v_mov_b32_e32 v33, v205                                    // 0000000093D8: 7E4203CD
	v_cvt_pkrtz_f16_f32 v191, v32, v33                         // 0000000093DC: D29600BF 00024320
	v_mov_b32_e32 v32, v206                                    // 0000000093E4: 7E4003CE
	v_mov_b32_e32 v33, v207                                    // 0000000093E8: 7E4203CF
	v_cvt_pkrtz_f16_f32 v192, v32, v33                         // 0000000093EC: D29600C0 00024320
	v_mov_b32_e32 v32, v208                                    // 0000000093F4: 7E4003D0
	v_mov_b32_e32 v33, v209                                    // 0000000093F8: 7E4203D1
	v_cvt_pkrtz_f16_f32 v193, v32, v33                         // 0000000093FC: D29600C1 00024320
	ds_write_b64 v27, v[186:187] offset:8704                   // 000000009404: D89A2200 0000BA1B
	ds_write_b64 v27, v[188:189] offset:9248                   // 00000000940C: D89A2420 0000BC1B
	ds_write_b64 v27, v[190:191] offset:9792                   // 000000009414: D89A2640 0000BE1B
	ds_write_b64 v27, v[192:193] offset:10336                  // 00000000941C: D89A2860 0000C01B
	s_waitcnt lgkmcnt(0)                                       // 000000009424: BF8CC07F
	s_barrier                                                  // 000000009428: BF8A0000
	ds_read_b64 v[186:187], v26 offset:8704                    // 00000000942C: D8EC2200 BA00001A
	ds_read_b64 v[188:189], v26 offset:8832                    // 000000009434: D8EC2280 BC00001A
	ds_read_b64 v[190:191], v26 offset:8768                    // 00000000943C: D8EC2240 BE00001A
	ds_read_b64 v[192:193], v26 offset:8896                    // 000000009444: D8EC22C0 C000001A
	s_waitcnt lgkmcnt(0)                                       // 00000000944C: BF8CC07F
	s_mov_b32 s70, s53                                         // 000000009450: BEC60035
	buffer_store_dwordx4 v[186:189], v10, s[40:43], 0 idxen    // 000000009454: E07C2000 800ABA0A
	s_mul_i32 s60, 2, s70                                      // 00000000945C: 923C4682
	v_add_u32_e32 v10, s60, v10                                // 000000009460: 6814143C
	buffer_store_dwordx4 v[190:193], v10, s[40:43], 0 idxen    // 000000009464: E07C2000 800ABE0A
	s_mul_i32 s60, 2, s70                                      // 00000000946C: 923C4682
	v_add_u32_e32 v10, s60, v10                                // 000000009470: 6814143C
	s_mul_i32 s60, 12, s70                                     // 000000009474: 923C468C
	v_add_u32_e32 v10, s60, v10                                // 000000009478: 6814143C
	s_cmp_ge_i32 2, s73                                        // 00000000947C: BF034982
	s_cbranch_scc1 label_1585                                  // 000000009480: BF850040
	v_mov_b32_e32 v32, v210                                    // 000000009484: 7E4003D2
	v_mov_b32_e32 v33, v211                                    // 000000009488: 7E4203D3
	v_cvt_pkrtz_f16_f32 v194, v32, v33                         // 00000000948C: D29600C2 00024320
	v_mov_b32_e32 v32, v212                                    // 000000009494: 7E4003D4
	v_mov_b32_e32 v33, v213                                    // 000000009498: 7E4203D5
	v_cvt_pkrtz_f16_f32 v195, v32, v33                         // 00000000949C: D29600C3 00024320
	v_mov_b32_e32 v32, v214                                    // 0000000094A4: 7E4003D6
	v_mov_b32_e32 v33, v215                                    // 0000000094A8: 7E4203D7
	v_cvt_pkrtz_f16_f32 v196, v32, v33                         // 0000000094AC: D29600C4 00024320
	v_mov_b32_e32 v32, v216                                    // 0000000094B4: 7E4003D8
	v_mov_b32_e32 v33, v217                                    // 0000000094B8: 7E4203D9
	v_cvt_pkrtz_f16_f32 v197, v32, v33                         // 0000000094BC: D29600C5 00024320
	v_mov_b32_e32 v32, v218                                    // 0000000094C4: 7E4003DA
	v_mov_b32_e32 v33, v219                                    // 0000000094C8: 7E4203DB
	v_cvt_pkrtz_f16_f32 v198, v32, v33                         // 0000000094CC: D29600C6 00024320
	v_mov_b32_e32 v32, v220                                    // 0000000094D4: 7E4003DC
	v_mov_b32_e32 v33, v221                                    // 0000000094D8: 7E4203DD
	v_cvt_pkrtz_f16_f32 v199, v32, v33                         // 0000000094DC: D29600C7 00024320
	v_mov_b32_e32 v32, v222                                    // 0000000094E4: 7E4003DE
	v_mov_b32_e32 v33, v223                                    // 0000000094E8: 7E4203DF
	v_cvt_pkrtz_f16_f32 v200, v32, v33                         // 0000000094EC: D29600C8 00024320
	v_mov_b32_e32 v32, v224                                    // 0000000094F4: 7E4003E0
	v_mov_b32_e32 v33, v225                                    // 0000000094F8: 7E4203E1
	v_cvt_pkrtz_f16_f32 v201, v32, v33                         // 0000000094FC: D29600C9 00024320
	ds_write_b64 v27, v[194:195] offset:17408                  // 000000009504: D89A4400 0000C21B
	ds_write_b64 v27, v[196:197] offset:17952                  // 00000000950C: D89A4620 0000C41B
	ds_write_b64 v27, v[198:199] offset:18496                  // 000000009514: D89A4840 0000C61B
	ds_write_b64 v27, v[200:201] offset:19040                  // 00000000951C: D89A4A60 0000C81B
	s_waitcnt lgkmcnt(0)                                       // 000000009524: BF8CC07F
	s_barrier                                                  // 000000009528: BF8A0000
	ds_read_b64 v[194:195], v26 offset:17408                   // 00000000952C: D8EC4400 C200001A
	ds_read_b64 v[196:197], v26 offset:17536                   // 000000009534: D8EC4480 C400001A
	ds_read_b64 v[198:199], v26 offset:17472                   // 00000000953C: D8EC4440 C600001A
	ds_read_b64 v[200:201], v26 offset:17600                   // 000000009544: D8EC44C0 C800001A
	s_waitcnt lgkmcnt(0)                                       // 00000000954C: BF8CC07F
	s_mov_b32 s70, s53                                         // 000000009550: BEC60035
	buffer_store_dwordx4 v[194:197], v10, s[40:43], 0 idxen    // 000000009554: E07C2000 800AC20A
	s_mul_i32 s60, 2, s70                                      // 00000000955C: 923C4682
	v_add_u32_e32 v10, s60, v10                                // 000000009560: 6814143C
	buffer_store_dwordx4 v[198:201], v10, s[40:43], 0 idxen    // 000000009564: E07C2000 800AC60A
	s_mul_i32 s60, 2, s70                                      // 00000000956C: 923C4682
	v_add_u32_e32 v10, s60, v10                                // 000000009570: 6814143C
	s_mul_i32 s60, 12, s70                                     // 000000009574: 923C468C
	v_add_u32_e32 v10, s60, v10                                // 000000009578: 6814143C
	s_cmp_ge_i32 3, s73                                        // 00000000957C: BF034983
	s_cbranch_scc1 label_1585                                  // 000000009580: BF850000

0000000000009584 <label_1585>:
	s_waitcnt vmcnt(0) expcnt(0) lgkmcnt(0)                    // 000000009584: BF8C0000
	s_endpgm                                                   // 000000009588: BF810000
